;; amdgpu-corpus repo=ROCm/rocFFT kind=compiled arch=gfx1201 opt=O3
	.text
	.amdgcn_target "amdgcn-amd-amdhsa--gfx1201"
	.amdhsa_code_object_version 6
	.protected	bluestein_single_back_len1785_dim1_half_op_CI_CI ; -- Begin function bluestein_single_back_len1785_dim1_half_op_CI_CI
	.globl	bluestein_single_back_len1785_dim1_half_op_CI_CI
	.p2align	8
	.type	bluestein_single_back_len1785_dim1_half_op_CI_CI,@function
bluestein_single_back_len1785_dim1_half_op_CI_CI: ; @bluestein_single_back_len1785_dim1_half_op_CI_CI
; %bb.0:
	s_load_b128 s[4:7], s[0:1], 0x28
	v_mul_u32_u24_e32 v1, 0x227, v0
	s_mov_b32 s2, exec_lo
	v_mov_b32_e32 v224, 0
	s_delay_alu instid0(VALU_DEP_2) | instskip(NEXT) | instid1(VALU_DEP_1)
	v_lshrrev_b32_e32 v1, 16, v1
	v_add_nc_u32_e32 v223, ttmp9, v1
	s_wait_kmcnt 0x0
	s_delay_alu instid0(VALU_DEP_1)
	v_cmpx_gt_u64_e64 s[4:5], v[223:224]
	s_cbranch_execz .LBB0_23
; %bb.1:
	s_clause 0x1
	s_load_b64 s[12:13], s[0:1], 0x0
	s_load_b64 s[14:15], s[0:1], 0x38
	v_mul_lo_u16 v1, 0x77, v1
	s_delay_alu instid0(VALU_DEP_1) | instskip(NEXT) | instid1(VALU_DEP_1)
	v_sub_nc_u16 v0, v0, v1
	v_and_b32_e32 v64, 0xffff, v0
	v_cmp_gt_u16_e32 vcc_lo, 0x69, v0
	s_delay_alu instid0(VALU_DEP_2)
	v_lshlrev_b32_e32 v63, 2, v64
	s_and_saveexec_b32 s3, vcc_lo
	s_cbranch_execz .LBB0_3
; %bb.2:
	s_load_b64 s[4:5], s[0:1], 0x18
	s_delay_alu instid0(VALU_DEP_1)
	v_add_nc_u32_e32 v37, 0x800, v63
	v_add_nc_u32_e32 v39, 0x1000, v63
	;; [unrolled: 1-line block ×3, first 2 shown]
	s_wait_kmcnt 0x0
	s_load_b128 s[8:11], s[4:5], 0x0
	s_wait_kmcnt 0x0
	v_mad_co_u64_u32 v[0:1], null, s10, v223, 0
	v_mad_co_u64_u32 v[2:3], null, s8, v64, 0
	s_mul_u64 s[4:5], s[8:9], 0x1a4
	s_delay_alu instid0(VALU_DEP_1) | instskip(NEXT) | instid1(VALU_DEP_2)
	v_mad_co_u64_u32 v[4:5], null, s11, v223, v[1:2]
	v_mov_b32_e32 v1, v3
	s_delay_alu instid0(VALU_DEP_1) | instskip(NEXT) | instid1(VALU_DEP_3)
	v_mad_co_u64_u32 v[5:6], null, s9, v64, v[1:2]
	v_mov_b32_e32 v1, v4
	s_clause 0x7
	global_load_b32 v4, v63, s[12:13]
	global_load_b32 v6, v63, s[12:13] offset:420
	global_load_b32 v7, v63, s[12:13] offset:840
	;; [unrolled: 1-line block ×7, first 2 shown]
	v_lshlrev_b64_e32 v[0:1], 2, v[0:1]
	v_mov_b32_e32 v3, v5
	s_clause 0x8
	global_load_b32 v5, v63, s[12:13] offset:3360
	global_load_b32 v13, v63, s[12:13] offset:3780
	global_load_b32 v14, v63, s[12:13] offset:4200
	global_load_b32 v15, v63, s[12:13] offset:4620
	global_load_b32 v16, v63, s[12:13] offset:5040
	global_load_b32 v17, v63, s[12:13] offset:5460
	global_load_b32 v18, v63, s[12:13] offset:5880
	global_load_b32 v19, v63, s[12:13] offset:6300
	global_load_b32 v20, v63, s[12:13] offset:6720
	v_lshlrev_b64_e32 v[2:3], 2, v[2:3]
	v_add_co_u32 v0, s2, s6, v0
	s_delay_alu instid0(VALU_DEP_1) | instskip(NEXT) | instid1(VALU_DEP_2)
	v_add_co_ci_u32_e64 v1, s2, s7, v1, s2
	v_add_co_u32 v0, s2, v0, v2
	s_wait_alu 0xf1ff
	s_delay_alu instid0(VALU_DEP_2) | instskip(SKIP_1) | instid1(VALU_DEP_2)
	v_add_co_ci_u32_e64 v1, s2, v1, v3, s2
	s_wait_alu 0xfffe
	v_add_co_u32 v2, s2, v0, s4
	s_wait_alu 0xf1ff
	s_delay_alu instid0(VALU_DEP_2)
	v_add_co_ci_u32_e64 v3, s2, s5, v1, s2
	s_clause 0x1
	global_load_b32 v21, v[0:1], off
	global_load_b32 v22, v[2:3], off
	v_add_co_u32 v0, s2, v2, s4
	s_wait_alu 0xf1ff
	v_add_co_ci_u32_e64 v1, s2, s5, v3, s2
	s_delay_alu instid0(VALU_DEP_2) | instskip(SKIP_1) | instid1(VALU_DEP_2)
	v_add_co_u32 v2, s2, v0, s4
	s_wait_alu 0xf1ff
	v_add_co_ci_u32_e64 v3, s2, s5, v1, s2
	s_clause 0x1
	global_load_b32 v23, v[0:1], off
	global_load_b32 v25, v[2:3], off
	v_add_co_u32 v0, s2, v2, s4
	s_wait_alu 0xf1ff
	v_add_co_ci_u32_e64 v1, s2, s5, v3, s2
	s_delay_alu instid0(VALU_DEP_2) | instskip(SKIP_1) | instid1(VALU_DEP_2)
	v_add_co_u32 v2, s2, v0, s4
	s_wait_alu 0xf1ff
	v_add_co_ci_u32_e64 v3, s2, s5, v1, s2
	global_load_b32 v26, v[0:1], off
	global_load_b32 v27, v[2:3], off
	v_add_co_u32 v0, s2, v2, s4
	s_wait_alu 0xf1ff
	v_add_co_ci_u32_e64 v1, s2, s5, v3, s2
	s_delay_alu instid0(VALU_DEP_2) | instskip(SKIP_1) | instid1(VALU_DEP_2)
	v_add_co_u32 v2, s2, v0, s4
	s_wait_alu 0xf1ff
	v_add_co_ci_u32_e64 v3, s2, s5, v1, s2
	global_load_b32 v28, v[0:1], off
	v_add_co_u32 v0, s2, v2, s4
	s_wait_alu 0xf1ff
	v_add_co_ci_u32_e64 v1, s2, s5, v3, s2
	global_load_b32 v29, v[2:3], off
	global_load_b32 v30, v[0:1], off
	v_add_co_u32 v0, s2, v0, s4
	s_wait_alu 0xf1ff
	v_add_co_ci_u32_e64 v1, s2, s5, v1, s2
	s_delay_alu instid0(VALU_DEP_2) | instskip(SKIP_1) | instid1(VALU_DEP_2)
	v_add_co_u32 v2, s2, v0, s4
	s_wait_alu 0xf1ff
	v_add_co_ci_u32_e64 v3, s2, s5, v1, s2
	global_load_b32 v31, v[0:1], off
	v_add_co_u32 v0, s2, v2, s4
	s_wait_alu 0xf1ff
	v_add_co_ci_u32_e64 v1, s2, s5, v3, s2
	global_load_b32 v32, v[2:3], off
	global_load_b32 v33, v[0:1], off
	v_add_co_u32 v0, s2, v0, s4
	s_wait_alu 0xf1ff
	v_add_co_ci_u32_e64 v1, s2, s5, v1, s2
	s_delay_alu instid0(VALU_DEP_2) | instskip(SKIP_1) | instid1(VALU_DEP_2)
	v_add_co_u32 v2, s2, v0, s4
	s_wait_alu 0xf1ff
	v_add_co_ci_u32_e64 v3, s2, s5, v1, s2
	global_load_b32 v34, v[0:1], off
	v_add_co_u32 v0, s2, v2, s4
	s_wait_alu 0xf1ff
	v_add_co_ci_u32_e64 v1, s2, s5, v3, s2
	global_load_b32 v35, v[2:3], off
	v_add_co_u32 v2, s2, v0, s4
	s_wait_alu 0xf1ff
	v_add_co_ci_u32_e64 v3, s2, s5, v1, s2
	global_load_b32 v36, v[0:1], off
	;; [unrolled: 4-line block ×3, first 2 shown]
	global_load_b32 v0, v[0:1], off
	v_add_nc_u32_e32 v1, 0x200, v63
	v_add_nc_u32_e32 v3, 0x600, v63
	s_wait_loadcnt 0x21
	v_lshrrev_b32_e32 v40, 16, v4
	s_wait_loadcnt 0x20
	v_lshrrev_b32_e32 v41, 16, v6
	s_wait_loadcnt 0x1f
	v_lshrrev_b32_e32 v42, 16, v7
	s_wait_loadcnt 0x1e
	v_lshrrev_b32_e32 v43, 16, v8
	s_wait_loadcnt 0x1d
	v_lshrrev_b32_e32 v44, 16, v9
	s_wait_loadcnt 0x1c
	v_lshrrev_b32_e32 v45, 16, v10
	s_wait_loadcnt 0x1b
	v_lshrrev_b32_e32 v46, 16, v11
	s_wait_loadcnt 0x1a
	v_lshrrev_b32_e32 v47, 16, v12
	s_wait_loadcnt 0x19
	v_lshrrev_b32_e32 v48, 16, v5
	s_wait_loadcnt 0x18
	v_lshrrev_b32_e32 v49, 16, v13
	s_wait_loadcnt 0x17
	v_lshrrev_b32_e32 v50, 16, v14
	s_wait_loadcnt 0x16
	v_lshrrev_b32_e32 v51, 16, v15
	s_wait_loadcnt 0x15
	v_lshrrev_b32_e32 v52, 16, v16
	s_wait_loadcnt 0x14
	v_lshrrev_b32_e32 v54, 16, v17
	s_wait_loadcnt 0x13
	v_lshrrev_b32_e32 v55, 16, v18
	s_wait_loadcnt 0x12
	v_lshrrev_b32_e32 v56, 16, v19
	s_wait_loadcnt 0x11
	v_lshrrev_b32_e32 v59, 16, v20
	s_wait_loadcnt 0x10
	v_lshrrev_b32_e32 v53, 16, v21
	v_mul_f16_e32 v57, v40, v21
	s_wait_loadcnt 0xf
	v_lshrrev_b32_e32 v58, 16, v22
	v_mul_f16_e32 v60, v41, v22
	v_mul_f16_e32 v40, v40, v53
	v_fma_f16 v53, v4, v53, -v57
	s_delay_alu instid0(VALU_DEP_2)
	v_fmac_f16_e32 v40, v4, v21
	v_mul_f16_e32 v4, v41, v58
	v_fma_f16 v41, v6, v58, -v60
	s_wait_loadcnt 0xe
	v_lshrrev_b32_e32 v21, 16, v23
	v_mul_f16_e32 v57, v42, v23
	v_fmac_f16_e32 v4, v6, v22
	s_wait_loadcnt 0xd
	v_lshrrev_b32_e32 v22, 16, v25
	v_pack_b32_f16 v40, v40, v53
	v_mul_f16_e32 v6, v42, v21
	v_mul_f16_e32 v42, v43, v25
	v_fma_f16 v21, v7, v21, -v57
	v_pack_b32_f16 v4, v4, v41
	s_delay_alu instid0(VALU_DEP_4)
	v_fmac_f16_e32 v6, v7, v23
	v_mul_f16_e32 v7, v43, v22
	s_wait_loadcnt 0xc
	v_lshrrev_b32_e32 v23, 16, v26
	v_fma_f16 v22, v8, v22, -v42
	v_mul_f16_e32 v41, v44, v26
	ds_store_2addr_b32 v63, v40, v4 offset1:105
	v_pack_b32_f16 v4, v6, v21
	v_fmac_f16_e32 v7, v8, v25
	v_mul_f16_e32 v6, v44, v23
	s_wait_loadcnt 0xb
	v_lshrrev_b32_e32 v8, 16, v27
	v_mul_f16_e32 v21, v45, v27
	v_fma_f16 v23, v9, v23, -v41
	v_pack_b32_f16 v7, v7, v22
	v_fmac_f16_e32 v6, v9, v26
	v_mul_f16_e32 v9, v45, v8
	v_fma_f16 v8, v10, v8, -v21
	s_wait_loadcnt 0xa
	v_lshrrev_b32_e32 v21, 16, v28
	v_mul_f16_e32 v22, v46, v28
	ds_store_2addr_b32 v1, v4, v7 offset0:82 offset1:187
	v_pack_b32_f16 v1, v6, v23
	v_fmac_f16_e32 v9, v10, v27
	v_mul_f16_e32 v4, v46, v21
	s_wait_loadcnt 0x9
	v_lshrrev_b32_e32 v6, 16, v29
	v_mul_f16_e32 v7, v47, v29
	v_fma_f16 v10, v11, v21, -v22
	v_pack_b32_f16 v8, v9, v8
	v_fmac_f16_e32 v4, v11, v28
	v_mul_f16_e32 v9, v47, v6
	v_fma_f16 v6, v12, v6, -v7
	s_wait_loadcnt 0x8
	v_lshrrev_b32_e32 v7, 16, v30
	v_mul_f16_e32 v11, v48, v30
	ds_store_2addr_b32 v3, v1, v8 offset0:36 offset1:141
	;; [unrolled: 15-line block ×3, first 2 shown]
	v_fmac_f16_e32 v5, v13, v31
	s_wait_loadcnt 0x5
	v_lshrrev_b32_e32 v6, 16, v33
	v_pack_b32_f16 v1, v3, v7
	v_mul_f16_e32 v3, v50, v8
	v_fma_f16 v7, v14, v8, -v9
	v_mul_f16_e32 v8, v51, v33
	v_pack_b32_f16 v4, v5, v4
	v_mul_f16_e32 v5, v51, v6
	v_fmac_f16_e32 v3, v14, v32
	s_wait_loadcnt 0x4
	v_lshrrev_b32_e32 v9, 16, v34
	v_fma_f16 v6, v15, v6, -v8
	v_mul_f16_e32 v8, v52, v34
	v_fmac_f16_e32 v5, v15, v33
	s_wait_loadcnt 0x3
	v_lshrrev_b32_e32 v10, 16, v35
	v_pack_b32_f16 v3, v3, v7
	v_mul_f16_e32 v7, v52, v9
	v_fma_f16 v8, v16, v9, -v8
	v_mul_f16_e32 v9, v54, v35
	v_pack_b32_f16 v5, v5, v6
	v_mul_f16_e32 v6, v54, v10
	v_fmac_f16_e32 v7, v16, v34
	s_wait_loadcnt 0x2
	v_lshrrev_b32_e32 v11, 16, v36
	v_fma_f16 v9, v17, v10, -v9
	v_mul_f16_e32 v10, v55, v36
	v_fmac_f16_e32 v6, v17, v35
	s_wait_loadcnt 0x1
	v_lshrrev_b32_e32 v12, 16, v2
	s_wait_loadcnt 0x0
	v_lshrrev_b32_e32 v13, 16, v0
	v_pack_b32_f16 v7, v7, v8
	v_mul_f16_e32 v8, v55, v11
	v_fma_f16 v10, v18, v11, -v10
	v_mul_f16_e32 v11, v56, v2
	v_pack_b32_f16 v6, v6, v9
	v_mul_f16_e32 v9, v56, v12
	v_mul_f16_e32 v14, v59, v13
	;; [unrolled: 1-line block ×3, first 2 shown]
	v_fmac_f16_e32 v8, v18, v36
	v_fma_f16 v11, v19, v12, -v11
	v_fmac_f16_e32 v9, v19, v2
	v_fmac_f16_e32 v14, v20, v0
	v_fma_f16 v0, v20, v13, -v15
	v_add_nc_u32_e32 v2, 0x1200, v63
	v_pack_b32_f16 v8, v8, v10
	v_pack_b32_f16 v9, v9, v11
	v_add_nc_u32_e32 v10, 0x1600, v63
	v_pack_b32_f16 v0, v14, v0
	ds_store_2addr_b32 v38, v1, v4 offset0:72 offset1:177
	ds_store_2addr_b32 v39, v3, v5 offset0:26 offset1:131
	;; [unrolled: 1-line block ×4, first 2 shown]
	ds_store_b32 v63, v0 offset:6720
.LBB0_3:
	s_or_b32 exec_lo, exec_lo, s3
	s_clause 0x1
	s_load_b64 s[4:5], s[0:1], 0x20
	s_load_b64 s[2:3], s[0:1], 0x8
	v_mov_b32_e32 v8, 0
                                        ; kill: def $vgpr0 killed $sgpr0 killed $exec
	global_wb scope:SCOPE_SE
	s_wait_dscnt 0x0
	s_wait_kmcnt 0x0
	s_barrier_signal -1
	s_barrier_wait -1
	global_inv scope:SCOPE_SE
                                        ; implicit-def: $vgpr16
                                        ; implicit-def: $vgpr1
                                        ; implicit-def: $vgpr3
                                        ; implicit-def: $vgpr5
                                        ; implicit-def: $vgpr7
                                        ; implicit-def: $vgpr11
                                        ; implicit-def: $vgpr13
                                        ; implicit-def: $vgpr15
                                        ; implicit-def: $vgpr90
	s_and_saveexec_b32 s0, vcc_lo
	s_cbranch_execz .LBB0_5
; %bb.4:
	v_add_nc_u32_e32 v0, 0x200, v63
	v_add_nc_u32_e32 v1, 0x600, v63
	;; [unrolled: 1-line block ×3, first 2 shown]
	ds_load_2addr_b32 v[8:9], v63 offset1:105
	v_add_nc_u32_e32 v3, 0x1200, v63
	ds_load_2addr_b32 v[14:15], v0 offset0:82 offset1:187
	ds_load_2addr_b32 v[12:13], v1 offset0:36 offset1:141
	v_add_nc_u32_e32 v0, 0xc00, v63
	v_add_nc_u32_e32 v1, 0x1000, v63
	;; [unrolled: 1-line block ×3, first 2 shown]
	ds_load_2addr_b32 v[10:11], v2 offset0:118 offset1:223
	ds_load_2addr_b32 v[6:7], v0 offset0:72 offset1:177
	;; [unrolled: 1-line block ×5, first 2 shown]
	ds_load_b32 v16, v63 offset:6720
	s_wait_dscnt 0x7
	v_alignbit_b32 v90, v14, v14, 16
.LBB0_5:
	s_wait_alu 0xfffe
	s_or_b32 exec_lo, exec_lo, s0
	s_wait_dscnt 0x0
	v_pk_add_f16 v14, v9, v16 neg_lo:[0,1] neg_hi:[0,1]
	v_pk_add_f16 v21, v90, v1 op_sel:[1,0] op_sel_hi:[0,1] neg_lo:[0,1] neg_hi:[0,1]
	v_pk_add_f16 v20, v16, v9
	v_pk_add_f16 v17, v1, v90 op_sel:[1,0] op_sel_hi:[0,1]
	v_pk_add_f16 v18, v15, v0 neg_lo:[0,1] neg_hi:[0,1]
	v_lshrrev_b32_e32 v80, 16, v14
	v_lshrrev_b32_e32 v81, 16, v21
	v_pk_mul_f16 v22, 0x3b7639e9, v20
	v_lshrrev_b32_e32 v35, 16, v20
	v_mul_f16_e32 v68, 0xb964, v14
	v_mul_f16_e32 v51, 0xb5c8, v80
	v_lshrrev_b32_e32 v33, 16, v17
	v_mul_f16_e32 v52, 0xb964, v81
	v_lshrrev_b32_e32 v82, 16, v18
	v_lshrrev_b32_e32 v31, 16, v8
	v_fmamk_f16 v23, v20, 0x3b76, v51
	v_pk_add_f16 v19, v0, v15
	v_pk_mul_f16 v25, 0xbbf7b964, v21
	v_mul_f16_e32 v69, 0xbbf7, v21
	v_fma_f16 v26, v35, 0x39e9, -v68
	v_fmamk_f16 v27, v33, 0x39e9, v52
	v_add_f16_e32 v23, v23, v8
	v_pk_fma_f16 v45, 0xb964b5c8, v14, v22 op_sel:[0,0,1] op_sel_hi:[1,1,0] neg_lo:[0,1,0] neg_hi:[0,1,0]
	v_pk_fma_f16 v46, 0xb964b5c8, v14, v22 op_sel:[0,0,1] op_sel_hi:[1,1,0]
	v_pk_add_f16 v22, v12, v3 neg_lo:[0,1] neg_hi:[0,1]
	v_mul_f16_e32 v58, 0xbb29, v82
	v_add_f16_e32 v26, v26, v31
	v_add_f16_e32 v27, v27, v23
	v_pk_fma_f16 v47, 0x2de839e9, v17, v25 neg_lo:[0,0,1] neg_hi:[0,0,1]
	v_pk_fma_f16 v48, 0x2de839e9, v17, v25
	v_fma_f16 v25, v17, 0x2de8, -v69
	v_lshrrev_b32_e32 v84, 16, v22
	v_fmamk_f16 v28, v19, 0x3722, v58
	v_lshrrev_b32_e32 v37, 16, v19
	v_mul_f16_e32 v72, 0xba62, v18
	v_pk_add_f16 v23, v3, v12
	v_mul_f16_e32 v57, 0xbbf7, v84
	v_pk_mul_f16 v29, 0x3722b8d2, v19
	v_add_f16_e32 v26, v25, v26
	v_add_f16_e32 v27, v28, v27
	v_fma_f16 v28, v37, 0xb8d2, -v72
	v_pk_add_f16 v25, v13, v2 neg_lo:[0,1] neg_hi:[0,1]
	v_fmamk_f16 v30, v23, 0x2de8, v57
	v_pk_fma_f16 v49, 0xba62bb29, v18, v29 op_sel:[0,0,1] op_sel_hi:[1,1,0] neg_lo:[0,1,0] neg_hi:[0,1,0]
	v_pk_fma_f16 v50, 0xba62bb29, v18, v29 op_sel:[0,0,1] op_sel_hi:[1,1,0]
	v_add_f16_e32 v29, v28, v26
	v_lshrrev_b32_e32 v86, 16, v25
	v_pk_add_f16 v26, v10, v5 neg_lo:[0,1] neg_hi:[0,1]
	v_add_f16_e32 v30, v30, v27
	v_pk_mul_f16 v28, 0x2de8bbdd, v23
	v_lshrrev_b32_e32 v36, 16, v23
	v_mul_f16_e32 v74, 0xb1e1, v22
	v_pk_add_f16 v27, v2, v13
	v_mul_f16_e32 v66, 0xbbb2, v86
	v_lshrrev_b32_e32 v87, 16, v26
	v_pk_fma_f16 v53, 0xb1e1bbf7, v22, v28 op_sel:[0,0,1] op_sel_hi:[1,1,0] neg_lo:[0,1,0] neg_hi:[0,1,0]
	v_pk_fma_f16 v54, 0xb1e1bbf7, v22, v28 op_sel:[0,0,1] op_sel_hi:[1,1,0]
	v_fma_f16 v32, v36, 0xbbdd, -v74
	v_fmamk_f16 v34, v27, 0xb461, v66
	v_lshrrev_b32_e32 v38, 16, v27
	v_mul_f16_e32 v76, 0x3836, v25
	v_pk_add_f16 v28, v5, v10
	v_mul_f16_e32 v67, 0xba62, v87
	v_add_f16_e32 v32, v32, v29
	v_add_f16_e32 v30, v34, v30
	v_fma_f16 v34, v38, 0xbacd, -v76
	v_pk_add_f16 v29, v11, v4 neg_lo:[0,1] neg_hi:[0,1]
	v_fmamk_f16 v40, v28, 0xb8d2, v67
	v_pk_mul_f16 v39, 0xb461bacd, v27
	v_mul_f16_e32 v79, 0x3bb2, v26
	v_add_f16_e32 v32, v34, v32
	v_lshrrev_b32_e32 v88, 16, v29
	v_add_f16_e32 v34, v40, v30
	v_pk_mul_f16 v40, 0xb8d2b461, v28
	v_pk_add_f16 v30, v4, v11
	v_pk_fma_f16 v55, 0x3836bbb2, v25, v39 op_sel:[0,0,1] op_sel_hi:[1,1,0] neg_lo:[0,1,0] neg_hi:[0,1,0]
	v_mul_f16_e32 v71, 0xb836, v88
	v_pk_fma_f16 v56, 0x3836bbb2, v25, v39 op_sel:[0,0,1] op_sel_hi:[1,1,0]
	v_pk_fma_f16 v59, 0x3bb2ba62, v26, v40 op_sel:[0,0,1] op_sel_hi:[1,1,0] neg_lo:[0,1,0] neg_hi:[0,1,0]
	v_pk_fma_f16 v60, 0x3bb2ba62, v26, v40 op_sel:[0,0,1] op_sel_hi:[1,1,0]
	v_lshrrev_b32_e32 v40, 16, v46
	v_lshrrev_b32_e32 v39, 16, v28
	v_fmamk_f16 v42, v30, 0xbacd, v71
	v_add_f16_e32 v44, v45, v31
	v_lshrrev_b32_e32 v61, 16, v48
	v_add_f16_e32 v40, v40, v8
	v_fma_f16 v41, v39, 0xb461, -v79
	v_add_f16_e32 v42, v42, v34
	v_add_f16_e32 v34, v47, v44
	v_lshrrev_b32_e32 v44, 16, v50
	v_add_f16_e32 v40, v61, v40
	v_pk_mul_f16 v43, 0xbacd3722, v30
	v_add_f16_e32 v62, v41, v32
	v_lshrrev_b32_e32 v41, 16, v30
	v_mul_f16_e32 v83, 0x3b29, v29
	v_add_f16_e32 v34, v49, v34
	v_add_f16_e32 v40, v44, v40
	v_lshrrev_b32_e32 v44, 16, v54
	v_pk_fma_f16 v70, 0x3b29b836, v29, v43 op_sel:[0,0,1] op_sel_hi:[1,1,0] neg_lo:[0,1,0] neg_hi:[0,1,0]
	v_pk_add_f16 v32, v6, v7 neg_lo:[0,1] neg_hi:[0,1]
	v_pk_fma_f16 v73, 0x3b29b836, v29, v43 op_sel:[0,0,1] op_sel_hi:[1,1,0]
	v_fma_f16 v43, v41, 0x3722, -v83
	v_add_f16_e32 v61, v53, v34
	v_add_f16_e32 v40, v44, v40
	v_lshrrev_b32_e32 v44, 16, v56
	v_pk_add_f16 v34, v7, v6
	v_lshrrev_b32_e32 v89, 16, v32
	v_add_f16_e32 v62, v43, v62
	v_add_f16_e32 v43, v55, v61
	;; [unrolled: 1-line block ×3, first 2 shown]
	v_lshrrev_b32_e32 v61, 16, v60
	v_pk_mul_f16 v77, 0xbbdd3b76, v34
	v_mul_f16_e32 v78, 0xb1e1, v89
	v_add_f16_e32 v43, v59, v43
	v_lshrrev_b32_e32 v44, 16, v34
	v_add_f16_e32 v40, v61, v40
	v_lshrrev_b32_e32 v61, 16, v73
	v_pk_fma_f16 v75, 0x35c8b1e1, v32, v77 op_sel:[0,0,1] op_sel_hi:[1,1,0]
	v_mul_f16_e32 v85, 0x35c8, v32
	v_fmamk_f16 v65, v34, 0xbbdd, v78
	v_pk_fma_f16 v77, 0x35c8b1e1, v32, v77 op_sel:[0,0,1] op_sel_hi:[1,1,0] neg_lo:[0,1,0] neg_hi:[0,1,0]
	v_add_f16_e32 v91, v70, v43
	v_add_f16_e32 v40, v61, v40
	v_lshrrev_b32_e32 v92, 16, v75
	v_fma_f16 v93, v44, 0x3b76, -v85
	v_add_f16_e32 v43, v65, v42
	v_add_f16_e32 v61, v77, v91
	v_mul_lo_u16 v65, v64, 17
	v_add_f16_e32 v42, v92, v40
	v_add_f16_e32 v62, v93, v62
	global_wb scope:SCOPE_SE
	s_barrier_signal -1
	s_barrier_wait -1
	global_inv scope:SCOPE_SE
	s_and_saveexec_b32 s0, vcc_lo
	s_cbranch_execz .LBB0_7
; %bb.6:
	v_alignbit_b32 v40, v8, v8, 16
	v_mul_f16_e32 v97, 0x3722, v35
	v_alignbit_b32 v90, v90, v90, 16
	v_mul_f16_e32 v98, 0xb8d2, v17
	v_mul_f16_e32 v100, 0xbbdd, v37
	v_pk_add_f16 v9, v9, v40 op_sel:[0,1] op_sel_hi:[1,0]
	v_fmamk_f16 v91, v14, 0x3b29, v97
	v_mul_f16_e32 v99, 0xbb29, v80
	v_fmamk_f16 v92, v21, 0x3a62, v98
	v_mul_f16_e32 v102, 0xb461, v36
	v_pk_add_f16 v9, v90, v9
	v_add_f16_e32 v90, v91, v31
	v_fmamk_f16 v91, v18, 0xb1e1, v100
	v_mul_f16_e32 v101, 0xba62, v81
	v_mul_f16_e32 v104, 0x39e9, v38
	v_pk_add_f16 v9, v15, v9
	v_add_f16_e32 v15, v92, v90
	v_fmamk_f16 v90, v20, 0x3722, v99
	v_fmamk_f16 v92, v22, 0xbbb2, v102
	v_mul_f16_e32 v103, 0x31e1, v82
	v_pk_add_f16 v9, v12, v9
	v_add_f16_e32 v12, v91, v15
	v_fmamk_f16 v91, v33, 0xb8d2, v101
	v_add_f16_e32 v90, v90, v8
	v_mul_f16_e32 v105, 0x3b76, v39
	v_pk_add_f16 v15, v13, v9
	v_add_f16_e32 v9, v92, v12
	v_fmamk_f16 v12, v25, 0xb964, v104
	v_add_f16_e32 v13, v91, v90
	v_fmamk_f16 v90, v19, 0xbbdd, v103
	v_mul_f16_e32 v106, 0x3bb2, v84
	v_mul_f16_e32 v107, 0x2de8, v41
	v_add_f16_e32 v9, v12, v9
	v_fmamk_f16 v12, v26, 0x35c8, v105
	v_add_f16_e32 v13, v90, v13
	v_fmamk_f16 v90, v23, 0xb461, v106
	v_mul_f16_e32 v108, 0x3964, v86
	v_mul_f16_e32 v96, 0xbacd, v44
	;; [unrolled: 6-line block ×7, first 2 shown]
	v_add_f16_e32 v12, v13, v12
	v_fmamk_f16 v13, v20, 0xb8d2, v112
	v_add_f16_e32 v90, v93, v90
	v_fmamk_f16 v93, v25, 0xbbf7, v113
	v_mul_f16_e32 v115, 0x39e9, v39
	v_fmamk_f16 v116, v33, 0xb461, v114
	v_add_f16_e32 v13, v13, v8
	v_mul_f16_e32 v117, 0xb5c8, v82
	v_add_f16_e32 v90, v93, v90
	v_fmamk_f16 v93, v26, 0x3964, v115
	v_mul_f16_e32 v118, 0xbbdd, v41
	v_add_f16_e32 v13, v116, v13
	v_fmamk_f16 v116, v19, 0x3b76, v117
	v_mul_f16_e32 v119, 0xb836, v84
	v_add_f16_e32 v90, v93, v90
	v_fmamk_f16 v93, v29, 0x31e1, v118
	v_mul_f16_e32 v120, 0x3722, v44
	v_add_f16_e32 v13, v116, v13
	v_fmamk_f16 v116, v23, 0xbacd, v119
	v_mul_f16_e32 v121, 0x3bf7, v86
	v_add_f16_e32 v90, v93, v90
	v_fmamk_f16 v93, v32, 0xbb29, v120
	v_mul_f16_e32 v122, 0xb836, v14
	v_add_f16_e32 v116, v116, v13
	v_fmamk_f16 v123, v27, 0x2de8, v121
	v_mul_f16_e32 v124, 0xb964, v87
	v_add_f16_e32 v13, v93, v90
	v_fmamk_f16 v90, v35, 0xbacd, v122
	v_mul_f16_e32 v125, 0x3b29, v21
	v_add_f16_e32 v93, v123, v116
	v_fmamk_f16 v116, v28, 0x39e9, v124
	v_mul_f16_e32 v123, 0xb1e1, v88
	v_add_f16_e32 v90, v90, v31
	v_fmamk_f16 v126, v17, 0x3722, v125
	v_mul_f16_e32 v127, 0xbbf7, v18
	v_add_f16_e32 v93, v116, v93
	v_fmamk_f16 v116, v30, 0xbbdd, v123
	v_mul_f16_e64 v128, 0x3b29, v89
	v_add_f16_e32 v90, v126, v90
	v_fmamk_f16 v126, v37, 0x2de8, v127
	v_mul_f16_e64 v129, 0x3a62, v22
	v_add_f16_e32 v93, v116, v93
	v_fma_f16 v116, 0x3722, v34, v128
	v_mul_f16_e64 v130, 0xb836, v80
	v_add_f16_e32 v126, v126, v90
	v_fma_f16 v131, 0xb8d2, v36, v129
	v_mul_f16_e64 v132, 0xb5c8, v25
	v_add_f16_e32 v90, v116, v93
	v_fma_f16 v93, v20, 0xbacd, -v130
	v_mul_f16_e32 v116, 0x3b29, v81
	v_add_f16_e64 v126, v131, v126
	v_fma_f16 v131, 0x3b76, v38, v132
	v_mul_f16_e64 v133, 0xb1e1, v26
	v_add_f16_e32 v93, v93, v8
	v_fma_f16 v134, v33, 0x3722, -v116
	v_mul_f16_e64 v135, 0xbbf7, v82
	v_fmac_f16_e32 v91, 0xba62, v14
	v_add_f16_e64 v126, v131, v126
	v_fma_f16 v131, 0xbbdd, v39, v133
	v_mul_f16_e64 v136, 0x3964, v29
	v_add_f16_e64 v93, v134, v93
	v_fma_f16 v134, v19, 0x2de8, -v135
	v_mul_f16_e64 v137, 0x3a62, v84
	v_add_f16_e32 v91, v91, v31
	v_fmac_f16_e32 v92, 0x3bb2, v21
	v_add_f16_e64 v126, v131, v126
	v_fma_f16 v131, 0x39e9, v41, v136
	v_add_f16_e64 v93, v134, v93
	v_fma_f16 v134, v23, 0xb8d2, -v137
	v_mul_f16_e64 v138, 0xb5c8, v86
	v_mul_f16_e64 v139, 0xbbb2, v32
	v_add_f16_e32 v91, v92, v91
	v_fmac_f16_e32 v94, 0xb5c8, v18
	v_add_f16_e64 v93, v134, v93
	v_fma_f16 v134, v27, 0x3b76, -v138
	v_mul_f16_e64 v140, 0xb1e1, v87
	v_add_f16_e64 v92, v131, v126
	v_fma_f16 v126, 0xb461, v44, v139
	v_add_f16_e32 v94, v94, v91
	v_fmac_f16_e32 v95, 0xb836, v22
	v_add_f16_e64 v93, v134, v93
	v_fma_f16 v131, v28, 0xbbdd, -v140
	v_add_f16_e32 v91, v126, v92
	v_mul_f16_e32 v126, 0x3964, v88
	v_fma_f16 v92, v20, 0xb8d2, -v112
	v_add_f16_e32 v94, v95, v94
	v_fmac_f16_e32 v113, 0x3bf7, v25
	v_add_f16_e64 v93, v131, v93
	v_fma_f16 v95, v30, 0x39e9, -v126
	v_add_f16_e32 v92, v92, v8
	v_fma_f16 v112, v33, 0xb461, -v114
	v_mul_f16_e32 v114, 0xbbb2, v89
	v_add_f16_e32 v94, v113, v94
	v_fmac_f16_e32 v115, 0xb964, v26
	v_add_f16_e32 v93, v95, v93
	v_add_f16_e32 v92, v112, v92
	v_fma_f16 v95, v19, 0x3b76, -v117
	v_fma_f16 v112, v34, 0xb461, -v114
	v_add_f16_e32 v94, v115, v94
	v_fmac_f16_e32 v118, 0xb1e1, v29
	v_mul_f16_e32 v113, 0xbbb2, v14
	v_add_f16_e32 v95, v95, v92
	v_fma_f16 v115, v23, 0xbacd, -v119
	v_add_f16_e32 v92, v112, v93
	v_add_f16_e32 v93, v118, v94
	v_fmamk_f16 v94, v35, 0xb461, v113
	v_mul_f16_e32 v112, 0x3836, v21
	v_add_f16_e32 v95, v115, v95
	v_fma_f16 v115, v27, 0x2de8, -v121
	v_mul_f16_e32 v118, 0x3964, v18
	v_add_f16_e32 v94, v94, v31
	v_fmamk_f16 v117, v17, 0xbacd, v112
	v_fmac_f16_e32 v120, 0x3b29, v32
	v_add_f16_e32 v95, v115, v95
	v_fma_f16 v115, v28, 0x39e9, -v124
	v_mul_f16_e32 v119, 0xbb29, v22
	v_add_f16_e32 v94, v117, v94
	v_fmamk_f16 v117, v37, 0x39e9, v118
	v_add_f16_e32 v93, v120, v93
	v_add_f16_e32 v95, v115, v95
	v_fma_f16 v115, v30, 0xbbdd, -v123
	v_mul_f16_e32 v120, 0xbbb2, v80
	v_add_f16_e32 v94, v117, v94
	v_fmamk_f16 v117, v36, 0x3722, v119
	v_mul_f16_e32 v121, 0xb1e1, v25
	v_add_f16_e32 v95, v115, v95
	v_fma_f16 v115, v20, 0xb461, -v120
	v_mul_f16_e32 v123, 0x3836, v81
	v_add_f16_e32 v94, v117, v94
	v_fmamk_f16 v117, v38, 0xbbdd, v121
	v_mul_f16_e32 v124, 0x3bf7, v26
	v_add_f16_e32 v115, v115, v8
	v_fma_f16 v131, v33, 0xbacd, -v123
	v_mul_f16_e64 v134, 0x3964, v82
	v_add_f16_e32 v94, v117, v94
	v_fmamk_f16 v117, v39, 0x2de8, v124
	v_mul_f16_e64 v141, 0xb5c8, v29
	v_add_f16_e64 v115, v131, v115
	v_fma_f16 v131, v19, 0x39e9, -v134
	v_mul_f16_e64 v142, 0xbb29, v84
	v_fma_f16 v128, v34, 0x3722, -v128
	v_add_f16_e32 v117, v117, v94
	v_fma_f16 v143, 0x3b76, v41, v141
	v_add_f16_e64 v115, v131, v115
	v_fma_f16 v131, v23, 0x3722, -v142
	v_mul_f16_e64 v144, 0xb1e1, v86
	v_add_f16_e64 v94, v128, v95
	v_add_f16_e64 v95, v143, v117
	v_mul_f16_e32 v117, 0xbbf7, v14
	v_add_f16_e64 v115, v131, v115
	v_fma_f16 v128, v27, 0xbbdd, -v144
	v_mul_f16_e64 v131, 0x3bf7, v87
	v_mul_f16_e64 v146, 0xb1e1, v21
	v_fma_f16 v145, 0x2de8, v35, v117
	v_mul_f16_e64 v147, 0xb5c8, v88
	v_add_f16_e64 v115, v128, v115
	v_fma_f16 v128, v28, 0x2de8, -v131
	v_fma_f16 v148, 0xbbdd, v17, v146
	v_add_f16_e64 v145, v145, v31
	v_mul_f16_e64 v149, 0x3bb2, v18
	v_mul_f16_e64 v151, 0x35c8, v22
	v_add_f16_e64 v115, v128, v115
	v_fma_f16 v128, v30, 0x3b76, -v147
	v_add_f16_e64 v145, v148, v145
	v_fma_f16 v148, 0xb461, v37, v149
	v_mul_f16_e32 v80, 0xbbf7, v80
	v_mul_f16_e32 v81, 0xb1e1, v81
	v_add_f16_e64 v115, v128, v115
	v_mul_f16_e64 v153, 0xb836, v26
	v_add_f16_e64 v128, v148, v145
	v_fma_f16 v145, 0x3b76, v36, v151
	v_mul_f16_e64 v148, 0xbb29, v25
	v_fma_f16 v152, v20, 0x2de8, -v80
	v_fma_f16 v154, v33, 0xbbdd, -v81
	v_mul_f16_e32 v82, 0x3bb2, v82
	v_add_f16_e64 v128, v145, v128
	v_fma_f16 v145, 0x3722, v38, v148
	v_add_f16_e64 v152, v152, v8
	v_fmac_f16_e32 v97, 0xbb29, v14
	v_fmac_f16_e32 v98, 0xba62, v21
	;; [unrolled: 1-line block ×3, first 2 shown]
	v_add_f16_e64 v128, v145, v128
	v_fma_f16 v145, 0xbacd, v39, v153
	v_add_f16_e64 v152, v154, v152
	v_fma_f16 v154, v19, 0xb461, -v82
	v_add_f16_e32 v97, v97, v31
	v_fmac_f16_e32 v102, 0x3bb2, v22
	v_add_f16_e64 v128, v145, v128
	v_fmac_f16_e32 v104, 0x3964, v25
	v_add_f16_e64 v145, v154, v152
	v_mul_f16_e64 v154, 0x3a62, v29
	v_add_f16_e32 v97, v98, v97
	v_fmac_f16_e32 v105, 0xb5c8, v26
	v_fma_f16 v99, v20, 0x3722, -v99
	v_fma_f16 v101, v33, 0xb8d2, -v101
	v_fma_f16 v98, 0xb8d2, v41, v154
	v_add_f16_e32 v97, v100, v97
	v_mul_f16_e32 v100, 0x3964, v32
	v_add_f16_e32 v99, v99, v8
	v_bfi_b32 v45, 0xffff, v46, v45
	v_add_f16_e64 v98, v98, v128
	v_add_f16_e32 v97, v102, v97
	v_fmamk_f16 v102, v44, 0x39e9, v100
	v_add_f16_e32 v99, v101, v99
	v_fma_f16 v101, v19, 0xbbdd, -v103
	v_bfi_b32 v46, 0xffff, v48, v47
	v_add_f16_e32 v97, v104, v97
	v_add_f16_e32 v98, v102, v98
	v_mul_f16_e32 v102, 0x39e9, v35
	v_add_f16_e32 v99, v101, v99
	v_fma_f16 v101, v23, 0xb461, -v106
	v_add_f16_e32 v97, v105, v97
	v_mul_f16_e32 v105, 0x2de8, v17
	v_add_f16_e32 v68, v68, v102
	v_mul_f16_e32 v102, 0xb8d2, v37
	v_fma_f16 v47, v35, 0xbacd, -v122
	v_bfi_b32 v48, 0xffff, v50, v49
	v_add_f16_e32 v69, v69, v105
	v_add_f16_e32 v68, v68, v31
	v_mul_f16_e32 v49, 0xbbdd, v34
	v_add_f16_e32 v47, v47, v31
	v_bfi_b32 v50, 0xffff, v54, v53
	v_bfi_b32 v54, 0xffff, v60, v59
	v_add_f16_e32 v68, v69, v68
	v_add_f16_e32 v69, v72, v102
	v_mul_f16_e32 v72, 0xbbdd, v36
	v_sub_f16_e32 v49, v49, v78
	v_fma_f16 v59, v17, 0xbacd, -v112
	v_fmac_f16_e32 v120, 0xb461, v20
	v_add_f16_e32 v68, v69, v68
	v_add_f16_e32 v69, v74, v72
	v_mul_f16_e32 v72, 0xbacd, v38
	v_add_f16_e32 v74, v101, v99
	v_mul_f16_e32 v99, 0x3b76, v20
	v_pk_add_f16 v10, v10, v15
	v_add_f16_e32 v68, v69, v68
	v_add_f16_e32 v69, v76, v72
	v_mul_f16_e32 v72, 0x39e9, v33
	v_sub_f16_e32 v51, v99, v51
	v_add_f16_e32 v60, v120, v8
	v_fmac_f16_e32 v123, 0xbacd, v33
	v_pk_add_f16 v10, v11, v10
	v_sub_f16_e32 v52, v72, v52
	v_add_f16_e32 v51, v51, v8
	v_mul_f16_e32 v72, 0x3722, v19
	v_fmac_f16_e64 v130, 0xbacd, v20
	v_fmac_f16_e64 v134, 0x39e9, v19
	v_fmac_f16_e32 v80, 0x2de8, v20
	v_add_f16_e32 v51, v52, v51
	v_sub_f16_e32 v52, v72, v58
	v_mul_f16_e32 v58, 0x2de8, v23
	v_pk_add_f16 v6, v6, v10
	v_bfi_b32 v53, 0xffff, v56, v55
	v_add_f16_e64 v55, v130, v8
	v_add_f16_e32 v51, v52, v51
	v_sub_f16_e32 v52, v58, v57
	v_mul_f16_e32 v57, 0xb461, v27
	v_fmac_f16_e64 v142, 0x3722, v23
	v_add_f16_e32 v8, v80, v8
	v_fmac_f16_e32 v81, 0xbbdd, v33
	v_add_f16_e32 v51, v52, v51
	v_sub_f16_e32 v52, v57, v66
	v_mul_f16_e32 v57, 0xb8d2, v28
	v_fma_f16 v15, v36, 0x3b76, -v151
	v_pk_add_f16 v6, v7, v6
	v_mul_f16_e64 v143, 0xba62, v32
	v_add_f16_e32 v51, v52, v51
	v_sub_f16_e32 v52, v57, v67
	v_mul_f16_e32 v57, 0xbacd, v30
	v_mul_f16_e32 v84, 0x35c8, v84
	v_fmac_f16_e64 v144, 0xbbdd, v27
	v_add_f16_e32 v8, v81, v8
	v_add_f16_e32 v51, v52, v51
	v_sub_f16_e32 v52, v57, v71
	v_fmac_f16_e32 v82, 0xb461, v19
	v_pk_add_f16 v4, v4, v6
	v_fma_f16 v150, 0xb8d2, v44, v143
	v_fma_f16 v152, v23, 0x3b76, -v84
	v_add_f16_e32 v51, v52, v51
	v_fma_f16 v52, v17, 0x3722, -v125
	v_mul_f16_e32 v86, 0xbb29, v86
	v_fmac_f16_e64 v131, 0x2de8, v28
	v_add_f16_e32 v8, v82, v8
	v_add_f16_e32 v49, v49, v51
	;; [unrolled: 1-line block ×3, first 2 shown]
	v_fma_f16 v52, v37, 0x2de8, -v127
	v_fma_f16 v51, v35, 0xb461, -v113
	;; [unrolled: 1-line block ×3, first 2 shown]
	v_fmac_f16_e32 v84, 0x3b76, v23
	v_pk_add_f16 v4, v5, v4
	v_add_f16_e32 v47, v52, v47
	v_fma_f16 v52, v36, 0xb8d2, -v129
	v_add_f16_e32 v51, v51, v31
	v_add_f16_e32 v31, v35, v31
	v_fma_f16 v35, v17, 0xbbdd, -v146
	v_add_f16_e64 v95, v150, v95
	v_add_f16_e32 v47, v52, v47
	v_fma_f16 v52, v38, 0x3b76, -v132
	v_add_f16_e32 v51, v59, v51
	v_fma_f16 v59, v37, 0x39e9, -v118
	v_add_f16_e32 v31, v35, v31
	v_fma_f16 v35, v37, 0xb461, -v149
	v_add_f16_e32 v47, v52, v47
	v_fma_f16 v52, v39, 0xbbdd, -v133
	v_add_f16_e32 v51, v59, v51
	v_fma_f16 v59, v36, 0x3722, -v119
	v_add_f16_e32 v31, v35, v31
	v_mul_f16_e64 v150, 0xba62, v89
	v_add_f16_e32 v47, v52, v47
	v_fma_f16 v52, v41, 0x39e9, -v136
	v_add_f16_e32 v51, v59, v51
	v_fma_f16 v59, v38, 0xbbdd, -v121
	;; [unrolled: 2-line block ×4, first 2 shown]
	v_add_f16_e32 v51, v59, v51
	v_add_f16_e32 v59, v123, v60
	;; [unrolled: 1-line block ×3, first 2 shown]
	v_fma_f16 v11, v39, 0xbacd, -v153
	v_add_f16_e32 v47, v52, v47
	v_fma_f16 v52, v39, 0x2de8, -v124
	v_add_f16_e64 v59, v134, v59
	v_add_f16_e64 v145, v152, v145
	v_fma_f16 v152, v27, 0x3722, -v86
	v_fmac_f16_e32 v116, 0x3722, v33
	v_add_f16_e32 v51, v52, v51
	v_fma_f16 v52, v41, 0x3b76, -v141
	v_fmac_f16_e64 v147, 0x3b76, v30
	v_add_f16_e32 v8, v84, v8
	v_fmac_f16_e32 v86, 0x3722, v27
	v_add_f16_e32 v10, v11, v10
	v_add_f16_e32 v51, v52, v51
	v_add_f16_e64 v52, v142, v59
	v_fma_f16 v11, v41, 0xb8d2, -v154
	v_pk_add_f16 v2, v2, v4
	v_fma_f16 v155, v34, 0xb8d2, -v150
	v_add_f16_e32 v6, v86, v8
	v_add_f16_e64 v52, v144, v52
	v_fmac_f16_e64 v150, 0xb8d2, v34
	v_add_f16_e32 v8, v11, v10
	v_fma_f16 v5, v44, 0x39e9, -v100
	v_pk_add_f16 v2, v3, v2
	v_add_f16_e64 v33, v131, v52
	v_and_b32_e32 v3, 0xffff, v65
	v_pk_mul_f16 v11, 0x35c8, v21 op_sel_hi:[0,1]
	v_add_f16_e32 v5, v5, v8
	v_pk_mul_f16 v8, 0xbbdd, v20 op_sel_hi:[0,1]
	v_add_f16_e64 v7, v147, v33
	v_pk_add_f16 v0, v0, v2
	v_lshlrev_b32_e32 v2, 2, v3
	v_pk_mul_f16 v15, 0x39e9, v23 op_sel_hi:[0,1]
	v_add_f16_e32 v55, v116, v55
	v_add_f16_e64 v4, v150, v7
	v_pk_add_f16 v7, v45, v40
	v_pk_add_f16 v0, v1, v0
	v_pk_fma_f16 v1, 0xb1e1, v14, v8 op_sel:[0,0,1] op_sel_hi:[0,1,0]
	v_fmac_f16_e64 v135, 0x2de8, v19
	v_fma_f16 v101, v27, 0x39e9, -v108
	v_pk_add_f16 v3, v46, v7
	v_pk_fma_f16 v7, 0xb1e1, v14, v8 op_sel:[0,0,1] op_sel_hi:[0,1,0] neg_lo:[0,1,0] neg_hi:[0,1,0]
	v_pk_fma_f16 v8, 0x3b76, v17, v11 op_sel_hi:[0,1,1] neg_lo:[0,0,1] neg_hi:[0,0,1]
	v_pk_mul_f16 v14, 0xbacd, v19 op_sel_hi:[0,1]
	v_pk_add_f16 v1, v1, v40
	v_pk_fma_f16 v11, 0x3b76, v17, v11 op_sel_hi:[0,1,1]
	v_pk_add_f16 v7, v7, v40
	v_mul_f16_e32 v76, 0xb461, v39
	v_pk_add_f16 v3, v48, v3
	v_add_f16_e64 v55, v135, v55
	v_pk_add_f16 v1, v11, v1
	v_pk_add_f16 v7, v8, v7
	v_pk_fma_f16 v8, 0xb836, v18, v14 op_sel:[0,0,1] op_sel_hi:[0,1,0] neg_lo:[0,1,0] neg_hi:[0,1,0]
	v_pk_fma_f16 v11, 0xb836, v18, v14 op_sel:[0,0,1] op_sel_hi:[0,1,0]
	v_pk_mul_f16 v14, 0xb8d2, v27 op_sel_hi:[0,1]
	v_fmac_f16_e64 v137, 0xb8d2, v23
	v_add_f16_e32 v74, v101, v74
	v_pk_add_f16 v7, v8, v7
	v_pk_fma_f16 v8, 0x3964, v22, v15 op_sel:[0,0,1] op_sel_hi:[0,1,0] neg_lo:[0,1,0] neg_hi:[0,1,0]
	v_pk_add_f16 v1, v11, v1
	v_pk_fma_f16 v11, 0x3964, v22, v15 op_sel:[0,0,1] op_sel_hi:[0,1,0]
	v_fma_f16 v99, v28, 0x3b76, -v109
	v_add_f16_e32 v68, v69, v68
	v_add_f16_e32 v69, v79, v76
	v_pk_add_f16 v3, v50, v3
	v_mul_f16_e32 v87, 0xb836, v87
	v_pk_add_f16 v7, v8, v7
	v_pk_fma_f16 v8, 0xba62, v25, v14 op_sel:[0,0,1] op_sel_hi:[0,1,0] neg_lo:[0,1,0] neg_hi:[0,1,0]
	v_pk_mul_f16 v15, 0x3722, v28 op_sel_hi:[0,1]
	v_pk_add_f16 v1, v11, v1
	v_pk_fma_f16 v11, 0xba62, v25, v14 op_sel:[0,0,1] op_sel_hi:[0,1,0]
	v_add_f16_e64 v55, v137, v55
	v_fmac_f16_e64 v138, 0x3b76, v27
	v_add_f16_e32 v74, v99, v74
	v_add_f16_e32 v68, v69, v68
	v_mul_f16_e32 v69, 0x3722, v41
	v_fma_f16 v72, v30, 0x2de8, -v110
	v_pk_add_f16 v3, v53, v3
	v_add_f16_e64 v145, v152, v145
	v_fma_f16 v152, v28, 0xbacd, -v87
	v_mul_f16_e32 v88, 0x3a62, v88
	v_pk_add_f16 v7, v8, v7
	v_pk_fma_f16 v8, 0x3b29, v26, v15 op_sel:[0,0,1] op_sel_hi:[0,1,0] neg_lo:[0,1,0] neg_hi:[0,1,0]
	v_pk_mul_f16 v14, 0xb461, v30 op_sel_hi:[0,1]
	v_pk_add_f16 v1, v11, v1
	v_pk_fma_f16 v11, 0x3b29, v26, v15 op_sel:[0,0,1] op_sel_hi:[0,1,0]
	v_add_f16_e64 v55, v138, v55
	v_fmac_f16_e64 v140, 0xbbdd, v28
	v_add_f16_e32 v58, v83, v69
	v_add_f16_e32 v69, v72, v74
	v_mul_f16_e32 v72, 0x3b76, v44
	v_bfi_b32 v56, 0xffff, v73, v70
	v_fmac_f16_e32 v87, 0xbacd, v28
	v_pk_add_f16 v3, v54, v3
	v_add_f16_e64 v145, v152, v145
	v_fma_f16 v152, v30, 0xb8d2, -v88
	v_mul_f16_e32 v89, 0x3964, v89
	v_fmac_f16_e32 v107, 0xbbf7, v29
	v_pk_add_f16 v7, v8, v7
	v_pk_fma_f16 v8, 0xbbb2, v29, v14 op_sel:[0,0,1] op_sel_hi:[0,1,0] neg_lo:[0,1,0] neg_hi:[0,1,0]
	v_pk_mul_f16 v15, 0x2de8, v34 op_sel_hi:[0,1]
	v_pk_add_f16 v1, v11, v1
	v_pk_fma_f16 v11, 0xbbb2, v29, v14 op_sel:[0,0,1] op_sel_hi:[0,1,0]
	v_add_f16_e64 v55, v140, v55
	v_fmac_f16_e32 v126, 0x39e9, v30
	v_add_f16_e32 v58, v58, v68
	v_add_f16_e32 v66, v85, v72
	v_bfi_b32 v57, 0xffff, v75, v77
	v_add_f16_e32 v6, v87, v6
	v_fmac_f16_e32 v88, 0xb8d2, v30
	v_pk_add_f16 v3, v56, v3
	v_add_f16_e64 v128, v152, v145
	v_fma_f16 v145, v34, 0x39e9, -v89
	v_add_f16_e32 v97, v107, v97
	v_fmac_f16_e32 v96, 0xb836, v32
	v_fma_f16 v68, v34, 0xbacd, -v111
	v_pk_add_f16 v7, v8, v7
	v_pk_fma_f16 v8, 0x3bf7, v32, v15 op_sel:[0,0,1] op_sel_hi:[0,1,0] neg_lo:[0,1,0] neg_hi:[0,1,0]
	v_pk_add_f16 v1, v11, v1
	v_pk_fma_f16 v11, 0x3bf7, v32, v15 op_sel:[0,0,1] op_sel_hi:[0,1,0]
	v_add_f16_e32 v55, v126, v55
	v_fmac_f16_e32 v114, 0xb461, v34
	v_add_f16_e32 v58, v66, v58
	v_fma_f16 v37, v44, 0xb8d2, -v143
	v_add_f16_e32 v6, v88, v6
	v_fmac_f16_e32 v89, 0x39e9, v34
	v_pk_add_f16 v3, v57, v3
	v_add_f16_e64 v104, v145, v128
	v_add_f16_e32 v67, v96, v97
	v_add_f16_e32 v68, v68, v69
	v_add_f16_e64 v115, v155, v115
	v_pk_add_f16 v0, v16, v0
	v_pack_b32_f16 v16, v92, v91
	v_pk_add_f16 v7, v8, v7
	v_pk_add_f16 v1, v11, v1
	v_add_f16_e32 v55, v114, v55
	v_add_f16_e32 v10, v37, v51
	;; [unrolled: 1-line block ×3, first 2 shown]
	v_alignbit_b32 v14, v58, v3, 16
	v_pack_b32_f16 v3, v49, v3
	v_pack_b32_f16 v15, v104, v98
	;; [unrolled: 1-line block ×5, first 2 shown]
	ds_store_2addr_b32 v2, v0, v16 offset1:7
	v_alignbit_b32 v0, v7, v1, 16
	v_alignbit_b32 v1, v1, v7, 16
	v_pack_b32_f16 v7, v90, v13
	v_pack_b32_f16 v13, v55, v47
	;; [unrolled: 1-line block ×5, first 2 shown]
	v_perm_b32 v9, v62, v42, 0x5040100
	v_perm_b32 v10, v61, v43, 0x5040100
	ds_store_2addr_b32 v2, v3, v14 offset0:1 offset1:2
	ds_store_2addr_b32 v2, v8, v15 offset0:3 offset1:4
	;; [unrolled: 1-line block ×7, first 2 shown]
	ds_store_b32 v2, v10 offset:64
.LBB0_7:
	s_wait_alu 0xfffe
	s_or_b32 exec_lo, exec_lo, s0
	v_and_b32_e32 v1, 0xff, v64
	v_add_nc_u16 v16, v64, 0x77
	v_add_co_u32 v0, null, 0xee, v64
	v_add_co_u32 v3, null, 0x165, v64
	s_delay_alu instid0(VALU_DEP_4) | instskip(NEXT) | instid1(VALU_DEP_4)
	v_mul_lo_u16 v2, 0xf1, v1
	v_and_b32_e32 v4, 0xff, v16
	s_delay_alu instid0(VALU_DEP_4) | instskip(NEXT) | instid1(VALU_DEP_4)
	v_and_b32_e32 v5, 0xffff, v0
	v_and_b32_e32 v8, 0xffff, v3
	s_load_b128 s[4:7], s[4:5], 0x0
	v_lshrrev_b16 v17, 12, v2
	v_add_co_u32 v2, null, 0x1dc, v64
	v_mul_lo_u16 v6, 0xf1, v4
	v_mul_u32_u24_e32 v9, 0xf0f1, v5
	s_delay_alu instid0(VALU_DEP_4) | instskip(NEXT) | instid1(VALU_DEP_4)
	v_mul_lo_u16 v7, v17, 17
	v_and_b32_e32 v10, 0xffff, v2
	global_wb scope:SCOPE_SE
	s_wait_dscnt 0x0
	v_lshrrev_b16 v18, 12, v6
	v_lshrrev_b32_e32 v19, 20, v9
	v_sub_nc_u16 v6, v64, v7
	v_mul_u32_u24_e32 v7, 0xf0f1, v8
	v_mul_u32_u24_e32 v8, 0xf0f1, v10
	v_mul_lo_u16 v9, v18, 17
	s_wait_kmcnt 0x0
	s_barrier_signal -1
	v_and_b32_e32 v20, 0xff, v6
	v_lshrrev_b32_e32 v21, 20, v7
	v_mul_lo_u16 v6, v19, 17
	v_lshrrev_b32_e32 v22, 20, v8
	v_sub_nc_u16 v7, v16, v9
	v_lshlrev_b32_e32 v8, 3, v20
	v_mul_lo_u16 v9, v21, 17
	v_sub_nc_u16 v23, v0, v6
	v_mul_lo_u16 v6, v22, 17
	v_and_b32_e32 v35, 0xff, v7
	s_barrier_wait -1
	v_sub_nc_u16 v36, v3, v9
	v_lshlrev_b16 v3, 1, v23
	v_sub_nc_u16 v37, v2, v6
	v_lshlrev_b32_e32 v2, 3, v35
	global_inv scope:SCOPE_SE
	v_lshlrev_b16 v6, 1, v36
	global_load_b64 v[33:34], v8, s[2:3]
	v_lshlrev_b16 v7, 1, v37
	global_load_b64 v[31:32], v2, s[2:3]
	v_and_b32_e32 v3, 0xffff, v3
	v_and_b32_e32 v2, 0xffff, v6
	v_mul_lo_u16 v39, 0xa1, v4
	v_and_b32_e32 v6, 0xffff, v7
	v_mul_u32_u24_e32 v40, 0xa0a1, v5
	v_lshlrev_b32_e32 v3, 2, v3
	v_lshlrev_b32_e32 v2, 2, v2
	v_and_b32_e32 v17, 0xffff, v17
	v_lshlrev_b32_e32 v6, 2, v6
	s_clause 0x2
	global_load_b64 v[29:30], v3, s[2:3]
	global_load_b64 v[27:28], v2, s[2:3]
	;; [unrolled: 1-line block ×3, first 2 shown]
	v_and_b32_e32 v2, 0xffff, v64
	v_and_b32_e32 v18, 0xffff, v18
	v_mul_u32_u24_e32 v17, 51, v17
	v_lshrrev_b16 v39, 13, v39
	v_lshrrev_b32_e32 v40, 21, v40
	v_lshlrev_b32_e32 v66, 2, v2
	v_mul_u32_u24_e32 v18, 51, v18
	v_add_lshl_u32 v70, v17, v20, 2
	v_mad_u16 v17, v19, 51, v23
	v_mad_u16 v19, v21, 51, v36
	v_add_nc_u32_e32 v121, 0x600, v66
	v_add_nc_u32_e32 v120, 0x1200, v66
	;; [unrolled: 1-line block ×5, first 2 shown]
	ds_load_2addr_b32 v[2:3], v66 offset1:119
	v_add_nc_u32_e32 v141, 0xe00, v66
	ds_load_b32 v38, v66 offset:6664
	ds_load_2addr_b32 v[4:5], v121 offset0:92 offset1:211
	ds_load_2addr_b32 v[6:7], v120 offset0:38 offset1:157
	;; [unrolled: 1-line block ×6, first 2 shown]
	v_mad_u16 v20, v22, 51, v37
	v_add_lshl_u32 v74, v18, v35, 2
	v_and_b32_e32 v17, 0xffff, v17
	v_and_b32_e32 v18, 0xffff, v19
	v_mul_lo_u16 v44, v39, 51
	v_and_b32_e32 v19, 0xffff, v20
	v_mul_lo_u16 v45, v40, 51
	v_lshlrev_b32_e32 v73, 2, v17
	v_lshlrev_b32_e32 v72, 2, v18
	v_sub_nc_u16 v16, v16, v44
	v_lshlrev_b32_e32 v71, 2, v19
	v_sub_nc_u16 v44, v0, v45
	v_mul_lo_u16 v1, 0xa1, v1
	global_wb scope:SCOPE_SE
	s_wait_loadcnt_dscnt 0x0
	v_lshrrev_b32_e32 v22, 16, v5
	v_lshrrev_b32_e32 v23, 16, v6
	;; [unrolled: 1-line block ×13, first 2 shown]
	v_lshrrev_b16 v1, 13, v1
	v_lshrrev_b32_e32 v55, 16, v4
	v_lshrrev_b32_e32 v52, 16, v11
	v_and_b32_e32 v48, 0xff, v16
	v_lshlrev_b16 v16, 4, v44
	v_mul_lo_u16 v41, v1, 51
	s_barrier_signal -1
	s_barrier_wait -1
	global_inv scope:SCOPE_SE
	v_and_b32_e32 v16, 0xffff, v16
	v_sub_nc_u16 v41, v64, v41
	v_lshlrev_b32_e32 v20, 4, v48
	v_and_b32_e32 v1, 0xffff, v1
	s_delay_alu instid0(VALU_DEP_3) | instskip(NEXT) | instid1(VALU_DEP_1)
	v_and_b32_e32 v41, 0xff, v41
	v_lshlrev_b32_e32 v21, 4, v41
	v_lshrrev_b32_e32 v88, 16, v33
	v_lshrrev_b32_e32 v87, 16, v34
	;; [unrolled: 1-line block ×4, first 2 shown]
	s_delay_alu instid0(VALU_DEP_4) | instskip(SKIP_3) | instid1(VALU_DEP_4)
	v_mul_f16_e32 v17, v22, v88
	v_mul_f16_e32 v18, v5, v88
	;; [unrolled: 1-line block ×4, first 2 shown]
	v_fma_f16 v5, v5, v33, -v17
	s_delay_alu instid0(VALU_DEP_4) | instskip(NEXT) | instid1(VALU_DEP_4)
	v_fmac_f16_e32 v18, v22, v33
	v_fma_f16 v6, v6, v34, -v19
	s_delay_alu instid0(VALU_DEP_4)
	v_fmac_f16_e32 v35, v23, v34
	v_mul_f16_e32 v17, v36, v89
	v_mul_f16_e32 v19, v8, v89
	;; [unrolled: 1-line block ×4, first 2 shown]
	v_lshrrev_b32_e32 v86, 16, v29
	v_lshrrev_b32_e32 v84, 16, v30
	;; [unrolled: 1-line block ×6, first 2 shown]
	v_fma_f16 v8, v8, v31, -v17
	v_fmac_f16_e32 v19, v36, v31
	v_fma_f16 v7, v7, v32, -v22
	v_fmac_f16_e32 v23, v37, v32
	v_mul_f16_e32 v17, v50, v86
	v_mul_f16_e32 v22, v9, v86
	;; [unrolled: 1-line block ×6, first 2 shown]
	v_add_f16_e32 v77, v5, v6
	v_sub_f16_e32 v78, v18, v35
	v_add_f16_e32 v79, v45, v18
	v_add_f16_e32 v18, v18, v35
	v_mul_f16_e32 v57, v53, v83
	v_mul_f16_e32 v58, v14, v83
	;; [unrolled: 1-line block ×6, first 2 shown]
	v_add_f16_e32 v76, v2, v5
	v_sub_f16_e32 v5, v5, v6
	v_fma_f16 v9, v9, v29, -v17
	v_fmac_f16_e32 v22, v50, v29
	v_fma_f16 v12, v12, v30, -v36
	v_fmac_f16_e32 v37, v51, v30
	;; [unrolled: 2-line block ×3, first 2 shown]
	v_fma_f16 v2, -0.5, v77, v2
	v_fmac_f16_e32 v45, -0.5, v18
	v_add_f16_e32 v18, v3, v8
	v_add_f16_e32 v36, v8, v7
	v_sub_f16_e32 v38, v19, v23
	v_add_f16_e32 v47, v46, v19
	v_add_f16_e32 v19, v19, v23
	v_fma_f16 v14, v14, v27, -v57
	v_fmac_f16_e32 v58, v53, v27
	v_fma_f16 v13, v13, v28, -v59
	v_fmac_f16_e32 v60, v54, v28
	;; [unrolled: 2-line block ×3, first 2 shown]
	v_add_f16_e32 v6, v76, v6
	v_add_f16_e32 v35, v79, v35
	v_sub_f16_e32 v8, v8, v7
	v_fmamk_f16 v50, v78, 0x3aee, v2
	v_fmamk_f16 v51, v5, 0xbaee, v45
	v_fmac_f16_e32 v45, 0x3aee, v5
	v_add_f16_e32 v5, v18, v7
	v_fmac_f16_e32 v3, -0.5, v36
	v_add_f16_e32 v7, v47, v23
	v_fmac_f16_e32 v46, -0.5, v19
	v_add_f16_e32 v19, v9, v12
	v_sub_f16_e32 v23, v22, v37
	v_add_f16_e32 v36, v49, v22
	v_add_f16_e32 v22, v22, v37
	v_fmac_f16_e32 v2, 0xbaee, v78
	v_add_f16_e32 v53, v14, v13
	v_add_f16_e32 v57, v58, v60
	;; [unrolled: 1-line block ×3, first 2 shown]
	v_sub_f16_e32 v67, v68, v75
	v_add_f16_e32 v69, v55, v68
	v_add_f16_e32 v68, v68, v75
	;; [unrolled: 1-line block ×3, first 2 shown]
	v_sub_f16_e32 v9, v9, v12
	v_pack_b32_f16 v6, v6, v35
	v_fmamk_f16 v35, v38, 0x3aee, v3
	v_fmac_f16_e32 v3, 0xbaee, v38
	v_fmamk_f16 v38, v8, 0xbaee, v46
	v_fma_f16 v10, -0.5, v19, v10
	v_fmac_f16_e32 v49, -0.5, v22
	v_pack_b32_f16 v22, v50, v51
	v_fmac_f16_e32 v46, 0x3aee, v8
	v_pack_b32_f16 v2, v2, v45
	v_add_f16_e32 v47, v11, v14
	v_sub_f16_e32 v54, v58, v60
	v_add_f16_e32 v56, v52, v58
	v_sub_f16_e32 v14, v14, v13
	v_fmac_f16_e32 v11, -0.5, v53
	v_fmac_f16_e32 v52, -0.5, v57
	v_add_f16_e32 v58, v4, v15
	v_sub_f16_e32 v15, v15, v17
	v_fmac_f16_e32 v4, -0.5, v59
	v_fmac_f16_e32 v55, -0.5, v68
	v_add_f16_e32 v8, v18, v12
	v_add_f16_e32 v12, v36, v37
	v_pack_b32_f16 v5, v5, v7
	v_fmamk_f16 v7, v23, 0x3aee, v10
	v_fmac_f16_e32 v10, 0xbaee, v23
	v_fmamk_f16 v23, v9, 0xbaee, v49
	ds_store_2addr_b32 v70, v6, v22 offset1:17
	ds_store_b32 v70, v2 offset:136
	v_pack_b32_f16 v2, v35, v38
	v_fmac_f16_e32 v49, 0x3aee, v9
	v_pack_b32_f16 v3, v3, v46
	v_add_f16_e32 v13, v47, v13
	v_add_f16_e32 v18, v56, v60
	v_fmamk_f16 v9, v54, 0x3aee, v11
	v_fmamk_f16 v36, v14, 0xbaee, v52
	v_fmac_f16_e32 v11, 0xbaee, v54
	v_fmac_f16_e32 v52, 0x3aee, v14
	v_add_f16_e32 v17, v58, v17
	v_add_f16_e32 v19, v69, v75
	v_fmamk_f16 v14, v67, 0x3aee, v4
	v_fmamk_f16 v37, v15, 0xbaee, v55
	v_fmac_f16_e32 v4, 0xbaee, v67
	v_fmac_f16_e32 v55, 0x3aee, v15
	v_pack_b32_f16 v6, v8, v12
	ds_store_2addr_b32 v74, v5, v2 offset1:17
	ds_store_b32 v74, v3 offset:136
	v_pack_b32_f16 v2, v7, v23
	v_pack_b32_f16 v3, v10, v49
	;; [unrolled: 1-line block ×8, first 2 shown]
	ds_store_2addr_b32 v73, v6, v2 offset1:17
	ds_store_b32 v73, v3 offset:136
	ds_store_2addr_b32 v72, v8, v5 offset1:17
	ds_store_b32 v72, v7 offset:136
	;; [unrolled: 2-line block ×3, first 2 shown]
	v_add_co_u32 v2, s0, s2, v16
	global_wb scope:SCOPE_SE
	s_wait_dscnt 0x0
	s_barrier_signal -1
	s_barrier_wait -1
	global_inv scope:SCOPE_SE
	global_load_b128 v[12:15], v21, s[2:3] offset:136
	s_wait_alu 0xf1ff
	v_add_co_ci_u32_e64 v3, null, s3, 0, s0
	s_clause 0x1
	global_load_b128 v[8:11], v20, s[2:3] offset:136
	global_load_b128 v[4:7], v[2:3], off offset:136
	v_and_b32_e32 v37, 0xffff, v39
	v_mul_u32_u24_e32 v3, 0xff, v1
	ds_load_2addr_b32 v[1:2], v66 offset1:119
	ds_load_2addr_b32 v[16:17], v115 offset0:110 offset1:229
	ds_load_2addr_b32 v[18:19], v140 offset0:74 offset1:193
	;; [unrolled: 1-line block ×4, first 2 shown]
	v_mad_u16 v39, 0xff, v40, v44
	ds_load_2addr_b32 v[35:36], v121 offset0:92 offset1:211
	v_mul_u32_u24_e32 v40, 0xff, v37
	ds_load_2addr_b32 v[37:38], v120 offset0:38 offset1:157
	v_add_lshl_u32 v69, v3, v41, 2
	ds_load_b32 v3, v66 offset:6664
	v_and_b32_e32 v39, 0xffff, v39
	v_add_lshl_u32 v68, v40, v48, 2
	global_wb scope:SCOPE_SE
	s_wait_loadcnt_dscnt 0x0
	s_barrier_signal -1
	s_barrier_wait -1
	v_lshlrev_b32_e32 v67, 2, v39
	global_inv scope:SCOPE_SE
	v_cmp_gt_u16_e64 s0, 17, v64
	v_lshrrev_b32_e32 v39, 16, v1
	v_lshrrev_b32_e32 v40, 16, v17
	;; [unrolled: 1-line block ×27, first 2 shown]
	v_mul_f16_e32 v56, v40, v114
	v_mul_f16_e32 v57, v17, v114
	;; [unrolled: 1-line block ×24, first 2 shown]
	v_fma_f16 v17, v17, v12, -v56
	v_fmac_f16_e32 v57, v40, v12
	v_fma_f16 v18, v18, v13, -v58
	v_fmac_f16_e32 v59, v41, v13
	;; [unrolled: 2-line block ×12, first 2 shown]
	v_add_f16_e32 v40, v1, v17
	v_add_f16_e32 v41, v18, v21
	v_sub_f16_e32 v47, v17, v18
	v_sub_f16_e32 v48, v22, v21
	v_add_f16_e32 v49, v17, v22
	v_sub_f16_e32 v50, v18, v17
	v_sub_f16_e32 v52, v21, v22
	v_add_f16_e32 v53, v39, v57
	v_add_f16_e32 v54, v59, v75
	;; [unrolled: 1-line block ×3, first 2 shown]
	v_sub_f16_e32 v56, v57, v59
	v_sub_f16_e32 v58, v77, v75
	v_add_f16_e32 v78, v2, v35
	v_add_f16_e32 v80, v19, v37
	v_add_f16_e32 v118, v46, v79
	v_add_f16_e32 v119, v91, v93
	v_add_f16_e32 v101, v35, v23
	v_add_f16_e32 v125, v79, v95
	v_sub_f16_e32 v44, v57, v77
	v_sub_f16_e32 v17, v17, v22
	v_sub_f16_e32 v55, v18, v21
	v_sub_f16_e32 v57, v59, v57
	v_sub_f16_e32 v76, v75, v77
	v_sub_f16_e32 v103, v19, v35
	v_sub_f16_e32 v116, v37, v23
	v_add_f16_e32 v127, v16, v36
	v_add_f16_e64 v128, v20, v38
	v_add_f16_e64 v133, v36, v3
	;; [unrolled: 1-line block ×5, first 2 shown]
	v_add_f16_e32 v18, v40, v18
	v_fma_f16 v40, -0.5, v41, v1
	v_add_f16_e32 v47, v47, v48
	v_fma_f16 v1, -0.5, v49, v1
	v_add_f16_e32 v48, v50, v52
	v_add_f16_e32 v49, v53, v59
	v_fma_f16 v50, -0.5, v54, v39
	v_sub_f16_e32 v45, v59, v75
	v_sub_f16_e32 v96, v35, v19
	;; [unrolled: 1-line block ×3, first 2 shown]
	v_sub_f16_e64 v129, v97, v117
	v_sub_f16_e64 v142, v97, v100
	v_sub_f16_e32 v97, v100, v97
	v_sub_f16_e64 v145, v102, v117
	v_fmac_f16_e32 v39, -0.5, v60
	v_sub_f16_e32 v92, v79, v95
	v_sub_f16_e32 v35, v35, v23
	;; [unrolled: 1-line block ×3, first 2 shown]
	v_add_f16_e32 v52, v56, v58
	v_add_f16_e32 v19, v78, v19
	v_fma_f16 v54, -0.5, v80, v2
	v_add_f16_e32 v58, v118, v91
	v_fma_f16 v59, -0.5, v119, v46
	v_sub_f16_e32 v94, v91, v93
	v_fmac_f16_e32 v2, -0.5, v101
	v_fmac_f16_e32 v46, -0.5, v125
	v_sub_f16_e64 v130, v100, v102
	v_sub_f16_e64 v131, v36, v20
	;; [unrolled: 1-line block ×3, first 2 shown]
	v_sub_f16_e32 v36, v36, v3
	v_sub_f16_e64 v138, v20, v38
	v_add_f16_e32 v53, v57, v76
	v_add_f16_e32 v57, v103, v116
	;; [unrolled: 1-line block ×3, first 2 shown]
	v_fma_f16 v41, -0.5, v128, v16
	v_fmac_f16_e64 v16, -0.5, v133
	v_add_f16_e64 v80, v136, v100
	v_fma_f16 v116, -0.5, v137, v51
	v_fmac_f16_e64 v51, -0.5, v144
	v_add_f16_e32 v18, v18, v21
	v_fmamk_f16 v21, v44, 0x3b9c, v40
	v_add_f16_e32 v49, v49, v75
	v_fmamk_f16 v75, v17, 0xbb9c, v50
	v_add_f16_e32 v56, v96, v98
	v_add_f16_e64 v96, v97, v145
	v_fmamk_f16 v97, v45, 0xbb9c, v1
	v_fmac_f16_e32 v1, 0x3b9c, v45
	v_fmamk_f16 v98, v55, 0x3b9c, v39
	v_fmac_f16_e32 v39, 0xbb9c, v55
	v_fmac_f16_e32 v40, 0xbb9c, v44
	;; [unrolled: 1-line block ×3, first 2 shown]
	v_sub_f16_e32 v123, v79, v91
	v_sub_f16_e32 v124, v95, v93
	v_sub_f16_e32 v126, v93, v95
	v_add_f16_e32 v19, v19, v37
	v_fmamk_f16 v37, v92, 0x3b9c, v54
	v_add_f16_e32 v58, v58, v93
	v_fmamk_f16 v93, v35, 0xbb9c, v59
	v_sub_f16_e32 v79, v91, v79
	v_fmamk_f16 v100, v94, 0xbb9c, v2
	v_fmac_f16_e32 v2, 0x3b9c, v94
	v_fmamk_f16 v101, v122, 0x3b9c, v46
	v_fmac_f16_e32 v46, 0xbb9c, v122
	v_sub_f16_e64 v132, v3, v38
	v_sub_f16_e64 v135, v38, v3
	;; [unrolled: 1-line block ×3, first 2 shown]
	v_fmac_f16_e32 v54, 0xbb9c, v92
	v_fmac_f16_e32 v59, 0x3b9c, v35
	v_add_f16_e32 v20, v20, v38
	v_fma_f16 v38, 0x3b9c, v129, v41
	v_fmac_f16_e64 v41, 0xbb9c, v129
	v_fma_f16 v103, 0xbb9c, v130, v16
	v_fmac_f16_e64 v16, 0x3b9c, v130
	v_add_f16_e32 v80, v80, v102
	v_fmamk_f16 v102, v36, 0xbb9c, v116
	v_fmac_f16_e32 v116, 0x3b9c, v36
	v_fma_f16 v118, 0x3b9c, v138, v51
	v_fmac_f16_e64 v51, 0xbb9c, v138
	v_fmac_f16_e32 v21, 0x38b4, v45
	v_fmac_f16_e32 v75, 0xb8b4, v55
	;; [unrolled: 1-line block ×8, first 2 shown]
	v_add_f16_e32 v60, v123, v124
	v_fmac_f16_e32 v37, 0x38b4, v94
	v_fmac_f16_e32 v93, 0xb8b4, v122
	v_add_f16_e32 v76, v79, v126
	v_fmac_f16_e32 v100, 0x38b4, v92
	v_fmac_f16_e32 v2, 0xb8b4, v92
	;; [unrolled: 1-line block ×4, first 2 shown]
	v_add_f16_e64 v78, v131, v132
	v_add_f16_e64 v79, v134, v135
	;; [unrolled: 1-line block ×3, first 2 shown]
	v_add_f16_e32 v18, v18, v22
	v_add_f16_e32 v22, v49, v77
	;; [unrolled: 1-line block ×3, first 2 shown]
	v_fmac_f16_e32 v54, 0xb8b4, v94
	v_add_f16_e32 v19, v58, v95
	v_fmac_f16_e32 v59, 0x38b4, v122
	v_fmac_f16_e64 v38, 0x38b4, v130
	v_fmac_f16_e64 v41, 0xb8b4, v130
	;; [unrolled: 1-line block ×6, first 2 shown]
	v_fmac_f16_e32 v118, 0xb8b4, v36
	v_fmac_f16_e32 v51, 0x38b4, v36
	;; [unrolled: 1-line block ×4, first 2 shown]
	v_add_f16_e32 v3, v20, v3
	v_add_f16_e32 v20, v80, v117
	v_fmac_f16_e32 v97, 0x34f2, v48
	v_fmac_f16_e32 v1, 0x34f2, v48
	;; [unrolled: 1-line block ×22, first 2 shown]
	v_pack_b32_f16 v18, v18, v22
	v_pack_b32_f16 v17, v17, v19
	;; [unrolled: 1-line block ×15, first 2 shown]
	ds_store_2addr_b32 v69, v18, v19 offset1:51
	ds_store_2addr_b32 v69, v20, v1 offset0:102 offset1:153
	ds_store_b32 v69, v21 offset:816
	ds_store_2addr_b32 v68, v17, v22 offset1:51
	ds_store_2addr_b32 v68, v23, v2 offset0:102 offset1:153
	ds_store_b32 v68, v35 offset:816
	;; [unrolled: 3-line block ×3, first 2 shown]
	global_wb scope:SCOPE_SE
	s_wait_dscnt 0x0
	s_barrier_signal -1
	s_barrier_wait -1
	global_inv scope:SCOPE_SE
	ds_load_2addr_b32 v[45:46], v66 offset1:119
	ds_load_2addr_b32 v[59:60], v115 offset0:127 offset1:246
	ds_load_2addr_b32 v[57:58], v121 offset0:126 offset1:245
	;; [unrolled: 1-line block ×6, first 2 shown]
                                        ; implicit-def: $vgpr118
                                        ; implicit-def: $vgpr48
                                        ; implicit-def: $vgpr119
                                        ; implicit-def: $vgpr117
                                        ; implicit-def: $vgpr122
                                        ; implicit-def: $vgpr123
	s_and_saveexec_b32 s1, s0
	s_cbranch_execz .LBB0_9
; %bb.8:
	v_add_nc_u32_e32 v1, 0x3b8, v66
	v_add_nc_u32_e32 v2, 0xbb0, v66
	;; [unrolled: 1-line block ×3, first 2 shown]
	ds_load_2addr_b32 v[41:42], v1 offset1:255
	ds_load_2addr_b32 v[43:44], v2 offset1:255
	;; [unrolled: 1-line block ×3, first 2 shown]
	ds_load_b32 v117, v66 offset:7072
	s_wait_dscnt 0x3
	v_lshrrev_b32_e32 v116, 16, v41
	v_lshrrev_b32_e32 v62, 16, v42
	s_wait_dscnt 0x2
	v_lshrrev_b32_e32 v61, 16, v43
	v_lshrrev_b32_e32 v118, 16, v44
	;; [unrolled: 3-line block ×3, first 2 shown]
	s_wait_dscnt 0x0
	v_lshrrev_b32_e32 v122, 16, v117
.LBB0_9:
	s_wait_alu 0xfffe
	s_or_b32 exec_lo, exec_lo, s1
	v_mad_co_u64_u32 v[1:2], null, v64, 24, s[2:3]
	s_wait_dscnt 0x5
	v_lshrrev_b32_e32 v75, 16, v59
	s_wait_dscnt 0x4
	v_lshrrev_b32_e32 v76, 16, v57
	;; [unrolled: 2-line block ×6, first 2 shown]
	s_clause 0x3
	global_load_b128 v[20:23], v[1:2], off offset:952
	global_load_b64 v[37:38], v[1:2], off offset:968
	global_load_b128 v[16:19], v[1:2], off offset:3808
	global_load_b64 v[39:40], v[1:2], off offset:3824
	v_subrev_nc_u32_e32 v1, 17, v64
	v_lshrrev_b32_e32 v126, 16, v60
	v_lshrrev_b32_e32 v127, 16, v58
	;; [unrolled: 1-line block ×4, first 2 shown]
	v_cndmask_b32_e64 v0, v1, v0, s0
	v_lshrrev_b32_e32 v130, 16, v52
	v_lshrrev_b32_e32 v131, 16, v50
	;; [unrolled: 1-line block ×4, first 2 shown]
	v_mul_i32_i24_e32 v1, 24, v0
	v_mul_hi_i32_i24_e32 v0, 24, v0
	s_delay_alu instid0(VALU_DEP_2) | instskip(SKIP_1) | instid1(VALU_DEP_2)
	v_add_co_u32 v35, s1, s2, v1
	s_wait_alu 0xf1ff
	v_add_co_ci_u32_e64 v36, s1, s3, v0, s1
	s_clause 0x1
	global_load_b128 v[0:3], v[35:36], off offset:952
	global_load_b64 v[35:36], v[35:36], off offset:968
	s_wait_loadcnt 0x5
	v_lshrrev_b32_e32 v103, 16, v20
	v_lshrrev_b32_e32 v102, 16, v21
	;; [unrolled: 1-line block ×4, first 2 shown]
	s_wait_loadcnt 0x4
	v_lshrrev_b32_e32 v98, 16, v37
	v_lshrrev_b32_e32 v97, 16, v38
	s_wait_loadcnt 0x3
	v_lshrrev_b32_e32 v96, 16, v16
	v_lshrrev_b32_e32 v95, 16, v17
	v_lshrrev_b32_e32 v94, 16, v18
	v_lshrrev_b32_e32 v93, 16, v19
	s_wait_loadcnt 0x2
	v_lshrrev_b32_e32 v92, 16, v39
	v_lshrrev_b32_e32 v91, 16, v40
	v_mul_f16_e64 v132, v75, v103
	v_mul_f16_e64 v133, v59, v103
	;; [unrolled: 1-line block ×24, first 2 shown]
	v_fma_f16 v59, v59, v20, -v132
	v_fmac_f16_e64 v133, v75, v20
	v_fma_f16 v57, v57, v21, -v134
	v_fmac_f16_e64 v135, v76, v21
	;; [unrolled: 2-line block ×12, first 2 shown]
	s_wait_loadcnt 0x1
	v_lshrrev_b32_e32 v80, 16, v0
	v_lshrrev_b32_e32 v78, 16, v1
	s_wait_loadcnt 0x0
	v_lshrrev_b32_e32 v79, 16, v35
	v_lshrrev_b32_e32 v222, 16, v36
	;; [unrolled: 1-line block ×4, first 2 shown]
	v_add_f16_e32 v126, v59, v49
	v_add_f16_e64 v127, v133, v146
	v_sub_f16_e32 v49, v59, v49
	v_sub_f16_e64 v59, v133, v146
	v_add_f16_e64 v128, v57, v51
	v_add_f16_e64 v129, v135, v144
	v_sub_f16_e32 v51, v57, v51
	v_sub_f16_e64 v57, v135, v144
	v_add_f16_e64 v130, v55, v53
	;; [unrolled: 4-line block ×5, first 2 shown]
	v_add_f16_e64 v137, v152, v154
	v_sub_f16_e32 v54, v54, v56
	v_sub_f16_e64 v56, v154, v152
	v_mul_f16_e64 v138, v62, v80
	v_mul_f16_e64 v142, v42, v80
	;; [unrolled: 1-line block ×12, first 2 shown]
	v_add_f16_e64 v153, v128, v126
	v_add_f16_e64 v154, v129, v127
	v_sub_f16_e64 v155, v128, v126
	v_sub_f16_e64 v156, v129, v127
	;; [unrolled: 1-line block ×6, first 2 shown]
	v_add_f16_e64 v157, v53, v51
	v_add_f16_e64 v158, v55, v57
	v_sub_f16_e64 v159, v53, v51
	v_sub_f16_e64 v160, v55, v57
	v_sub_f16_e32 v51, v51, v49
	v_sub_f16_e32 v57, v57, v59
	v_add_f16_e64 v161, v134, v132
	v_add_f16_e64 v162, v135, v133
	v_sub_f16_e64 v163, v134, v132
	v_sub_f16_e64 v164, v135, v133
	;; [unrolled: 1-line block ×4, first 2 shown]
	v_add_f16_e64 v165, v54, v52
	v_add_f16_e64 v166, v56, v58
	v_sub_f16_e64 v167, v54, v52
	v_sub_f16_e64 v168, v56, v58
	;; [unrolled: 1-line block ×3, first 2 shown]
	v_sub_f16_e32 v58, v58, v60
	v_fma_f16 v42, v42, v0, -v138
	v_fmac_f16_e64 v142, v62, v0
	v_fma_f16 v43, v43, v1, -v143
	v_fmac_f16_e64 v144, v61, v1
	;; [unrolled: 2-line block ×4, first 2 shown]
	v_sub_f16_e32 v53, v49, v53
	v_sub_f16_e32 v55, v59, v55
	v_sub_f16_e64 v132, v132, v136
	v_sub_f16_e64 v133, v133, v137
	v_sub_f16_e32 v54, v50, v54
	v_sub_f16_e32 v56, v60, v56
	v_fma_f16 v44, v44, v2, -v145
	v_fmac_f16_e64 v146, v118, v2
	v_fma_f16 v47, v47, v3, -v147
	v_fmac_f16_e64 v148, v123, v3
	v_add_f16_e64 v61, v130, v153
	v_add_f16_e64 v62, v131, v154
	v_mul_f16_e32 v117, 0x3a52, v126
	v_mul_f16_e32 v118, 0x3a52, v127
	v_mul_f16_e64 v119, 0x2b26, v128
	v_mul_f16_e64 v122, 0x2b26, v129
	;; [unrolled: 1-line block ×4, first 2 shown]
	v_mul_f16_e32 v127, 0x3b00, v51
	v_mul_f16_e64 v130, 0x3b00, v57
	v_add_f16_e64 v131, v136, v161
	v_add_f16_e64 v136, v137, v162
	v_mul_f16_e64 v137, 0x2b26, v134
	v_mul_f16_e64 v138, 0x2b26, v135
	;; [unrolled: 1-line block ×6, first 2 shown]
	v_add_f16_e64 v151, v42, v52
	v_add_f16_e64 v153, v142, v152
	v_sub_f16_e64 v142, v142, v152
	v_add_f16_e64 v152, v43, v48
	v_add_f16_e64 v154, v144, v150
	v_add_f16_e64 v49, v157, v49
	v_add_f16_e64 v59, v158, v59
	v_mul_f16_e64 v132, 0x3a52, v132
	v_mul_f16_e64 v133, 0x3a52, v133
	v_sub_f16_e32 v42, v42, v52
	v_sub_f16_e32 v43, v43, v48
	v_sub_f16_e64 v48, v144, v150
	v_add_f16_e64 v144, v44, v47
	v_add_f16_e64 v150, v146, v148
	v_sub_f16_e32 v44, v47, v44
	v_sub_f16_e64 v146, v148, v146
	v_add_f16_e32 v47, v45, v61
	v_add_f16_e32 v45, v124, v62
	v_fma_f16 v124, 0x2b26, v128, v117
	v_fma_f16 v128, 0x2b26, v129, v118
	v_fma_f16 v119, v155, 0x39e0, -v119
	v_fma_f16 v129, v156, 0x39e0, -v122
	;; [unrolled: 1-line block ×3, first 2 shown]
	v_fma_f16 v148, 0x3574, v53, v123
	v_fma_f16 v155, 0x3574, v55, v126
	v_fma_f16 v51, v51, 0x3b00, -v123
	v_fma_f16 v57, v57, 0x3b00, -v126
	;; [unrolled: 1-line block ×4, first 2 shown]
	v_add_f16_e64 v52, v46, v131
	v_add_f16_e64 v122, v125, v136
	v_fma_f16 v55, v163, 0x39e0, -v137
	v_fma_f16 v123, v164, 0x39e0, -v138
	v_fma_f16 v137, 0x3574, v54, v143
	v_fma_f16 v138, 0x3574, v56, v145
	v_fma_f16 v58, v58, 0x3b00, -v145
	v_fma_f16 v145, v54, 0xb574, -v147
	;; [unrolled: 1-line block ×3, first 2 shown]
	v_add_f16_e64 v54, v152, v151
	v_add_f16_e64 v56, v154, v153
	;; [unrolled: 1-line block ×4, first 2 shown]
	v_fma_f16 v118, v156, 0xb9e0, -v118
	v_fma_f16 v46, 0x2b26, v134, v132
	v_fma_f16 v53, 0x2b26, v135, v133
	v_fma_f16 v125, v163, 0xb9e0, -v132
	v_fma_f16 v130, v164, 0xb9e0, -v133
	;; [unrolled: 1-line block ×3, first 2 shown]
	v_sub_f16_e64 v132, v152, v151
	v_sub_f16_e64 v133, v154, v153
	;; [unrolled: 1-line block ×6, first 2 shown]
	v_add_f16_e64 v152, v44, v43
	v_add_f16_e64 v153, v146, v48
	v_sub_f16_e64 v154, v44, v43
	v_sub_f16_e64 v156, v146, v48
	v_sub_f16_e32 v43, v43, v42
	v_sub_f16_e64 v48, v48, v142
	v_fmamk_f16 v61, v61, 0xbcab, v47
	v_fmamk_f16 v62, v62, 0xbcab, v45
	v_fmac_f16_e64 v148, 0x370e, v49
	v_fmac_f16_e64 v155, 0x370e, v59
	v_fmac_f16_e32 v51, 0x370e, v49
	v_fmac_f16_e32 v57, 0x370e, v59
	;; [unrolled: 1-line block ×4, first 2 shown]
	v_fma_f16 v49, 0xbcab, v131, v52
	v_fma_f16 v59, 0xbcab, v136, v122
	v_add_f16_e64 v144, v144, v54
	v_add_f16_e64 v150, v150, v56
	v_sub_f16_e32 v44, v42, v44
	v_sub_f16_e64 v146, v142, v146
	v_fmac_f16_e64 v137, 0x370e, v50
	v_fmac_f16_e64 v138, 0x370e, v60
	;; [unrolled: 1-line block ×3, first 2 shown]
	v_fmac_f16_e32 v58, 0x370e, v60
	v_fmac_f16_e64 v145, 0x370e, v50
	v_fmac_f16_e64 v147, 0x370e, v60
	v_pack_b32_f16 v50, v47, v45
	v_pack_b32_f16 v60, v52, v122
	v_add_f16_e64 v42, v152, v42
	v_add_f16_e64 v142, v153, v142
	v_mul_f16_e64 v54, 0x3a52, v134
	v_mul_f16_e64 v56, 0x3a52, v135
	;; [unrolled: 1-line block ×8, first 2 shown]
	v_add_f16_e32 v124, v124, v61
	v_add_f16_e64 v128, v128, v62
	v_add_f16_e32 v119, v119, v61
	v_add_f16_e64 v129, v129, v62
	v_add_f16_e32 v61, v117, v61
	v_add_f16_e32 v62, v118, v62
	;; [unrolled: 1-line block ×5, first 2 shown]
	v_add_f16_e64 v154, v123, v59
	v_add_f16_e32 v125, v125, v49
	v_add_f16_e64 v49, v41, v144
	v_add_f16_e64 v123, v116, v150
	;; [unrolled: 1-line block ×3, first 2 shown]
	ds_store_2addr_b32 v66, v50, v60 offset1:119
	v_fma_f16 v41, 0x2b26, v149, v54
	v_fma_f16 v50, 0x2b26, v151, v56
	v_fma_f16 v116, v132, 0x39e0, -v131
	v_fma_f16 v149, v133, 0x39e0, -v134
	;; [unrolled: 1-line block ×4, first 2 shown]
	v_fma_f16 v158, 0x3574, v44, v135
	v_fma_f16 v159, 0x3574, v146, v136
	v_fma_f16 v160, v43, 0x3b00, -v135
	v_fma_f16 v43, v48, 0x3b00, -v136
	;; [unrolled: 1-line block ×4, first 2 shown]
	v_add_f16_e64 v48, v155, v124
	v_sub_f16_e64 v135, v128, v148
	v_add_f16_e32 v53, v127, v61
	v_sub_f16_e64 v136, v62, v126
	v_add_f16_e64 v134, v51, v129
	v_sub_f16_e64 v133, v129, v51
	v_sub_f16_e32 v56, v61, v127
	v_add_f16_e64 v132, v126, v62
	v_sub_f16_e64 v51, v124, v155
	v_add_f16_e64 v59, v138, v46
	v_sub_f16_e64 v130, v117, v137
	v_sub_f16_e32 v61, v118, v58
	v_add_f16_e32 v62, v58, v118
	v_sub_f16_e64 v58, v46, v138
	v_add_f16_e64 v124, v137, v117
	v_fma_f16 v46, 0xbcab, v144, v49
	v_fma_f16 v117, 0xbcab, v150, v123
	v_sub_f16_e32 v54, v119, v57
	v_add_f16_e32 v55, v57, v119
	v_add_f16_e64 v131, v148, v128
	v_add_f16_e64 v60, v147, v125
	v_sub_f16_e64 v128, v156, v145
	v_fmac_f16_e64 v158, 0x370e, v42
	v_fmac_f16_e64 v159, 0x370e, v142
	;; [unrolled: 1-line block ×6, first 2 shown]
	v_pack_b32_f16 v42, v48, v135
	v_pack_b32_f16 v118, v59, v130
	v_add_f16_e32 v41, v41, v46
	v_add_f16_e32 v119, v50, v117
	;; [unrolled: 1-line block ×3, first 2 shown]
	v_add_f16_e64 v149, v149, v117
	v_add_f16_e64 v46, v151, v46
	;; [unrolled: 1-line block ×4, first 2 shown]
	v_sub_f16_e64 v126, v154, v143
	v_sub_f16_e64 v57, v125, v147
	v_add_f16_e64 v125, v145, v156
	v_pack_b32_f16 v142, v53, v136
	v_pack_b32_f16 v147, v60, v128
	ds_store_2addr_b32 v115, v42, v118 offset0:127 offset1:246
	v_add_f16_e64 v50, v159, v41
	v_sub_f16_e64 v138, v119, v158
	v_add_f16_e64 v129, v44, v46
	v_sub_f16_e64 v137, v117, v152
	v_sub_f16_e32 v42, v116, v43
	v_add_f16_e64 v115, v160, v149
	v_add_f16_e32 v43, v43, v116
	v_sub_f16_e64 v116, v149, v160
	v_sub_f16_e32 v44, v46, v44
	v_add_f16_e64 v117, v152, v117
	v_sub_f16_e64 v118, v41, v159
	v_add_f16_e64 v119, v158, v119
	v_pack_b32_f16 v143, v54, v134
	v_pack_b32_f16 v148, v61, v127
	;; [unrolled: 1-line block ×8, first 2 shown]
	ds_store_2addr_b32 v121, v142, v147 offset0:126 offset1:245
	ds_store_2addr_b32 v140, v143, v148 offset0:125 offset1:244
	;; [unrolled: 1-line block ×5, first 2 shown]
	s_and_saveexec_b32 s1, s0
	s_cbranch_execz .LBB0_11
; %bb.10:
	v_perm_b32 v41, v123, v49, 0x5040100
	v_perm_b32 v46, v138, v50, 0x5040100
	v_add_nc_u32_e32 v120, 0x3b8, v66
	v_perm_b32 v121, v137, v129, 0x5040100
	v_perm_b32 v139, v115, v42, 0x5040100
	v_add_nc_u32_e32 v140, 0xbb0, v66
	;; [unrolled: 3-line block ×3, first 2 shown]
	v_perm_b32 v144, v119, v118, 0x5040100
	ds_store_2addr_b32 v120, v41, v46 offset1:255
	ds_store_2addr_b32 v140, v121, v139 offset1:255
	;; [unrolled: 1-line block ×3, first 2 shown]
	ds_store_b32 v66, v144 offset:7072
.LBB0_11:
	s_wait_alu 0xfffe
	s_or_b32 exec_lo, exec_lo, s1
	global_wb scope:SCOPE_SE
	s_wait_dscnt 0x0
	s_barrier_signal -1
	s_barrier_wait -1
	global_inv scope:SCOPE_SE
	s_and_saveexec_b32 s1, vcc_lo
	s_cbranch_execz .LBB0_13
; %bb.12:
	global_load_b32 v41, v63, s[12:13] offset:7140
	s_add_nc_u64 s[2:3], s[12:13], 0x1be4
	s_clause 0xf
	global_load_b32 v46, v63, s[2:3] offset:420
	global_load_b32 v153, v63, s[2:3] offset:840
	;; [unrolled: 1-line block ×16, first 2 shown]
	ds_load_b32 v120, v66
	v_add_nc_u32_e32 v168, 0x400, v63
	v_add_nc_u32_e32 v169, 0x800, v63
	;; [unrolled: 1-line block ×6, first 2 shown]
	s_wait_dscnt 0x0
	v_lshrrev_b32_e32 v121, 16, v120
	s_wait_loadcnt 0xf
	v_lshrrev_b32_e32 v174, 16, v46
	s_wait_loadcnt 0xe
	;; [unrolled: 2-line block ×12, first 2 shown]
	v_lshrrev_b32_e32 v185, 16, v163
	v_lshrrev_b32_e32 v139, 16, v41
	s_wait_loadcnt 0x3
	v_lshrrev_b32_e32 v186, 16, v164
	s_wait_loadcnt 0x2
	;; [unrolled: 2-line block ×4, first 2 shown]
	v_lshrrev_b32_e32 v189, 16, v167
	v_mul_f16_e64 v140, v121, v139
	v_mul_f16_e64 v139, v120, v139
	s_delay_alu instid0(VALU_DEP_2) | instskip(NEXT) | instid1(VALU_DEP_2)
	v_fma_f16 v120, v120, v41, -v140
	v_fmac_f16_e64 v139, v121, v41
	v_add_nc_u32_e32 v41, 0xe00, v63
	s_delay_alu instid0(VALU_DEP_2)
	v_pack_b32_f16 v120, v120, v139
	ds_store_b32 v66, v120
	ds_load_2addr_b32 v[120:121], v63 offset0:105 offset1:210
	ds_load_2addr_b32 v[139:140], v168 offset0:59 offset1:164
	;; [unrolled: 1-line block ×8, first 2 shown]
	s_wait_dscnt 0x7
	v_lshrrev_b32_e32 v190, 16, v120
	v_lshrrev_b32_e32 v192, 16, v121
	s_wait_dscnt 0x6
	v_lshrrev_b32_e32 v194, 16, v139
	v_lshrrev_b32_e32 v196, 16, v140
	;; [unrolled: 3-line block ×5, first 2 shown]
	v_mul_f16_e64 v191, v120, v174
	v_mul_f16_e64 v193, v121, v175
	s_wait_dscnt 0x2
	v_lshrrev_b32_e32 v210, 16, v147
	v_lshrrev_b32_e32 v212, 16, v148
	s_wait_dscnt 0x1
	v_lshrrev_b32_e32 v214, 16, v149
	v_lshrrev_b32_e32 v216, 16, v150
	;; [unrolled: 3-line block ×3, first 2 shown]
	v_mul_f16_e64 v174, v190, v174
	v_mul_f16_e64 v175, v192, v175
	;; [unrolled: 1-line block ×24, first 2 shown]
	v_fmac_f16_e64 v191, v190, v46
	v_fmac_f16_e64 v193, v192, v153
	v_mul_f16_e64 v184, v210, v184
	v_mul_f16_e64 v185, v212, v185
	v_mul_f16_e64 v186, v214, v186
	v_mul_f16_e64 v187, v216, v187
	v_mul_f16_e64 v188, v218, v188
	v_mul_f16_e64 v189, v220, v189
	v_fma_f16 v46, v120, v46, -v174
	v_fma_f16 v120, v121, v153, -v175
	v_fmac_f16_e64 v195, v194, v154
	v_fmac_f16_e64 v197, v196, v155
	v_fma_f16 v121, v139, v154, -v176
	v_fma_f16 v139, v140, v155, -v177
	v_fmac_f16_e64 v199, v198, v156
	v_fmac_f16_e64 v201, v200, v157
	;; [unrolled: 4-line block ×5, first 2 shown]
	v_fmac_f16_e64 v215, v214, v164
	v_fmac_f16_e64 v217, v216, v165
	;; [unrolled: 1-line block ×4, first 2 shown]
	v_fma_f16 v146, v147, v162, -v184
	v_fma_f16 v147, v148, v163, -v185
	;; [unrolled: 1-line block ×6, first 2 shown]
	v_pack_b32_f16 v46, v46, v191
	v_pack_b32_f16 v120, v120, v193
	v_pack_b32_f16 v121, v121, v195
	v_pack_b32_f16 v139, v139, v197
	v_pack_b32_f16 v140, v140, v199
	v_pack_b32_f16 v141, v141, v201
	v_pack_b32_f16 v142, v142, v203
	v_pack_b32_f16 v143, v143, v205
	v_pack_b32_f16 v144, v144, v207
	v_pack_b32_f16 v145, v145, v209
	v_pack_b32_f16 v146, v146, v211
	v_pack_b32_f16 v147, v147, v213
	v_pack_b32_f16 v148, v148, v215
	v_pack_b32_f16 v149, v149, v217
	v_pack_b32_f16 v150, v150, v219
	v_pack_b32_f16 v151, v151, v221
	ds_store_2addr_b32 v63, v46, v120 offset0:105 offset1:210
	ds_store_2addr_b32 v168, v121, v139 offset0:59 offset1:164
	;; [unrolled: 1-line block ×8, first 2 shown]
.LBB0_13:
	s_wait_alu 0xfffe
	s_or_b32 exec_lo, exec_lo, s1
	global_wb scope:SCOPE_SE
	s_wait_dscnt 0x0
	s_barrier_signal -1
	s_barrier_wait -1
	global_inv scope:SCOPE_SE
	s_and_saveexec_b32 s1, vcc_lo
	s_cbranch_execz .LBB0_15
; %bb.14:
	v_add_nc_u32_e32 v41, 0x200, v66
	v_add_nc_u32_e32 v45, 0x600, v66
	;; [unrolled: 1-line block ×3, first 2 shown]
	ds_load_2addr_b32 v[47:48], v66 offset1:105
	ds_load_2addr_b32 v[53:54], v41 offset0:82 offset1:187
	v_add_nc_u32_e32 v41, 0xc00, v66
	ds_load_2addr_b32 v[55:56], v45 offset0:36 offset1:141
	v_add_nc_u32_e32 v45, 0x1000, v66
	;; [unrolled: 2-line block ×4, first 2 shown]
	ds_load_2addr_b32 v[61:62], v45 offset0:26 offset1:131
	ds_load_2addr_b32 v[57:58], v46 offset0:108 offset1:213
	;; [unrolled: 1-line block ×3, first 2 shown]
	ds_load_b32 v129, v66 offset:6720
	s_wait_dscnt 0x8
	v_lshrrev_b32_e32 v45, 16, v47
	v_lshrrev_b32_e32 v135, 16, v48
	s_wait_dscnt 0x7
	v_lshrrev_b32_e32 v136, 16, v53
	v_lshrrev_b32_e32 v134, 16, v54
	;; [unrolled: 3-line block ×8, first 2 shown]
	s_wait_dscnt 0x0
	v_lshrrev_b32_e32 v137, 16, v129
.LBB0_15:
	s_wait_alu 0xfffe
	s_or_b32 exec_lo, exec_lo, s1
	s_delay_alu instid0(VALU_DEP_1)
	v_sub_f16_e64 v200, v135, v137
	v_add_f16_e64 v167, v137, v135
	v_add_f16_e64 v199, v129, v48
	v_sub_f16_e64 v139, v48, v129
	v_add_f16_e64 v169, v138, v136
	v_mul_f16_e64 v201, 0xb5c8, v200
	v_mul_f16_e64 v75, 0x3b76, v167
	v_sub_f16_e64 v172, v136, v138
	v_add_f16_e64 v140, v50, v53
	v_mul_f16_e64 v202, 0xb964, v200
	v_fma_f16 v41, v199, 0x3b76, -v201
	v_fma_f16 v46, 0xb5c8, v139, v75
	v_mul_f16_e64 v162, 0x39e9, v167
	v_mul_f16_e64 v90, 0xb964, v172
	v_sub_f16_e64 v141, v53, v50
	v_mul_f16_e64 v149, 0x39e9, v169
	v_add_f16_e32 v41, v47, v41
	v_add_f16_e32 v46, v45, v46
	v_fma_f16 v120, v199, 0x39e9, -v202
	v_fma_f16 v121, 0xb964, v139, v162
	v_fma_f16 v142, v140, 0x39e9, -v90
	v_sub_f16_e64 v178, v134, v123
	v_fma_f16 v143, 0xb964, v141, v149
	v_mul_f16_e64 v164, 0xbbf7, v172
	v_mul_f16_e64 v166, 0x2de8, v169
	v_add_f16_e64 v180, v123, v134
	v_add_f16_e32 v120, v47, v120
	v_add_f16_e32 v121, v45, v121
	v_add_f16_e64 v41, v142, v41
	v_add_f16_e64 v142, v49, v54
	v_mul_f16_e64 v152, 0xbb29, v178
	v_add_f16_e64 v46, v143, v46
	v_fma_f16 v144, v140, 0x2de8, -v164
	v_fma_f16 v145, 0xbbf7, v141, v166
	v_sub_f16_e64 v143, v54, v49
	v_mul_f16_e64 v155, 0x3722, v180
	v_sub_f16_e64 v184, v133, v124
	v_fma_f16 v146, v142, 0x3722, -v152
	v_add_f16_e64 v120, v144, v120
	v_add_f16_e64 v121, v145, v121
	v_fma_f16 v145, 0xbb29, v143, v155
	v_mul_f16_e64 v165, 0xba62, v178
	v_mul_f16_e64 v170, 0xb8d2, v180
	v_add_f16_e64 v144, v58, v55
	v_mul_f16_e64 v156, 0xbbf7, v184
	v_add_f16_e64 v185, v124, v133
	v_add_f16_e64 v41, v146, v41
	;; [unrolled: 1-line block ×3, first 2 shown]
	v_fma_f16 v146, v142, 0xb8d2, -v165
	v_fma_f16 v147, 0xba62, v143, v170
	v_fma_f16 v148, v144, 0x2de8, -v156
	v_sub_f16_e64 v145, v55, v58
	v_mul_f16_e64 v158, 0x2de8, v185
	v_sub_f16_e64 v188, v132, v125
	v_mul_f16_e64 v173, 0xb1e1, v184
	v_mul_f16_e64 v175, 0xbbdd, v185
	v_add_f16_e64 v189, v125, v132
	v_add_f16_e64 v120, v146, v120
	;; [unrolled: 1-line block ×4, first 2 shown]
	v_fma_f16 v148, 0xbbf7, v145, v158
	v_add_f16_e64 v146, v57, v56
	v_mul_f16_e64 v159, 0xbbb2, v188
	v_fma_f16 v150, v144, 0xbbdd, -v173
	v_fma_f16 v151, 0xb1e1, v145, v175
	v_sub_f16_e64 v147, v56, v57
	v_mul_f16_e64 v160, 0xb461, v189
	v_add_f16_e64 v194, v126, v131
	v_fma_f16 v153, v146, 0xb461, -v159
	v_add_f16_e64 v46, v148, v46
	v_add_f16_e64 v120, v150, v120
	;; [unrolled: 1-line block ×3, first 2 shown]
	v_fma_f16 v151, 0xbbb2, v147, v160
	v_sub_f16_e64 v192, v131, v126
	v_mul_f16_e64 v177, 0x3836, v188
	v_mul_f16_e64 v181, 0xbacd, v189
	v_sub_f16_e64 v150, v51, v62
	v_mul_f16_e64 v163, 0xb8d2, v194
	v_add_f16_e64 v41, v153, v41
	v_add_f16_e64 v148, v62, v51
	v_mul_f16_e64 v161, 0xba62, v192
	v_fma_f16 v153, v146, 0xbacd, -v177
	v_fma_f16 v154, 0x3836, v147, v181
	v_add_f16_e64 v46, v151, v46
	v_fma_f16 v151, 0xba62, v150, v163
	v_mul_f16_e64 v182, 0x3bb2, v192
	v_sub_f16_e64 v195, v122, v127
	v_add_f16_e64 v196, v127, v122
	v_fma_f16 v157, v148, 0xb8d2, -v161
	v_add_f16_e64 v120, v153, v120
	v_add_f16_e64 v121, v154, v121
	;; [unrolled: 1-line block ×3, first 2 shown]
	v_mul_f16_e64 v183, 0xb461, v194
	v_fma_f16 v153, v148, 0xb461, -v182
	v_add_f16_e64 v151, v61, v52
	v_mul_f16_e64 v168, 0xb836, v195
	v_sub_f16_e64 v154, v52, v61
	v_mul_f16_e64 v171, 0xbacd, v196
	v_mul_f16_e64 v186, 0x3b29, v195
	v_add_f16_e64 v41, v157, v41
	v_fma_f16 v157, 0x3bb2, v150, v183
	v_fma_f16 v176, v151, 0xbacd, -v168
	v_add_f16_e64 v120, v153, v120
	v_fma_f16 v153, 0xb836, v154, v171
	v_fma_f16 v179, v151, 0x3722, -v186
	v_mul_f16_e64 v187, 0x3722, v196
	v_sub_f16_e64 v197, v130, v128
	v_add_f16_e64 v198, v128, v130
	v_add_f16_e64 v121, v157, v121
	;; [unrolled: 1-line block ×5, first 2 shown]
	v_fma_f16 v120, 0x3b29, v154, v187
	v_add_f16_e64 v153, v60, v59
	v_sub_f16_e64 v157, v59, v60
	v_mul_f16_e64 v174, 0xb1e1, v197
	v_mul_f16_e64 v176, 0xbbdd, v198
	;; [unrolled: 1-line block ×4, first 2 shown]
	v_add_f16_e32 v121, v120, v121
	v_fma_f16 v120, v153, 0xbbdd, -v174
	v_fma_f16 v204, 0xb1e1, v157, v176
	v_fma_f16 v205, v153, 0x3b76, -v179
	v_fma_f16 v206, 0x35c8, v157, v190
	global_wb scope:SCOPE_SE
	v_add_f16_e32 v41, v120, v41
	v_add_f16_e64 v120, v204, v46
	v_add_f16_e64 v46, v205, v203
	;; [unrolled: 1-line block ×3, first 2 shown]
	s_barrier_signal -1
	s_barrier_wait -1
	global_inv scope:SCOPE_SE
	s_and_saveexec_b32 s1, vcc_lo
	s_cbranch_execz .LBB0_17
; %bb.16:
	v_add_f16_e32 v48, v48, v47
	v_mul_f16_e64 v203, 0xba62, v172
	v_mul_f16_e64 v204, 0x3bb2, v145
	v_mul_f16_e64 v205, 0x3964, v147
	v_mul_f16_e64 v206, 0xb5c8, v150
	v_add_f16_e32 v48, v53, v48
	v_mul_f16_e64 v53, 0xbb29, v200
	v_mul_f16_e64 v207, 0x31e1, v178
	v_mul_f16_e64 v208, 0xbbf7, v154
	v_mul_f16_e64 v209, 0x3bb2, v184
	;; [unrolled: 5-line block ×4, first 2 shown]
	v_add_f16_e32 v48, v56, v48
	v_mul_f16_e64 v56, 0xb836, v200
	v_mul_f16_e64 v248, 0xbbdd, v169
	v_fma_f16 v215, 0xb461, v169, v214
	v_fma_f16 v231, 0x3b76, v169, v230
	v_add_f16_e32 v48, v51, v48
	v_mul_f16_e64 v51, 0x39e9, v199
	v_fma_f16 v230, v169, 0x3b76, -v230
	v_fma_f16 v214, v169, 0xb461, -v214
	v_fma_f16 v249, 0x31e1, v141, v248
	v_add_f16_e32 v48, v52, v48
	v_mul_f16_e64 v52, 0x3b76, v199
	v_add_f16_e64 v51, v51, v202
	v_add_f16_e64 v135, v135, v45
	v_fmac_f16_e64 v248, 0xb1e1, v141
	v_add_f16_e32 v48, v59, v48
	v_add_f16_e64 v52, v52, v201
	v_fma_f16 v59, v199, 0xbbdd, -v54
	v_fmac_f16_e64 v54, 0xbbdd, v199
	v_add_f16_e64 v135, v136, v135
	v_add_f16_e32 v48, v60, v48
	v_fma_f16 v60, v199, 0xb8d2, -v55
	v_fmac_f16_e64 v55, 0xb8d2, v199
	v_add_f16_e32 v59, v47, v59
	v_add_f16_e32 v54, v47, v54
	;; [unrolled: 1-line block ×3, first 2 shown]
	v_fma_f16 v61, v199, 0x3722, -v53
	v_fmac_f16_e64 v53, 0x3722, v199
	v_add_f16_e32 v60, v47, v60
	v_add_f16_e32 v55, v47, v55
	;; [unrolled: 1-line block ×3, first 2 shown]
	v_fma_f16 v62, 0xbacd, v199, v56
	v_fma_f16 v56, v199, 0xbacd, -v56
	v_add_f16_e32 v61, v47, v61
	v_add_f16_e32 v53, v47, v53
	;; [unrolled: 1-line block ×3, first 2 shown]
	v_mul_f16_e64 v57, 0xbbb2, v200
	v_add_f16_e32 v62, v47, v62
	v_add_f16_e64 v202, v47, v52
	v_add_f16_e32 v56, v47, v56
	v_add_f16_e32 v48, v58, v48
	v_mul_f16_e64 v58, 0xbbf7, v200
	v_fma_f16 v200, 0xb461, v199, v57
	v_fma_f16 v57, v199, 0xb461, -v57
	v_add_f16_e64 v134, v134, v135
	v_mul_f16_e64 v135, 0xb5c8, v139
	v_fma_f16 v201, 0x2de8, v199, v58
	v_fma_f16 v58, v199, 0x2de8, -v58
	v_add_f16_e64 v199, v47, v200
	v_add_f16_e32 v52, v47, v57
	v_mul_f16_e64 v57, 0xbb29, v139
	v_add_f16_e64 v200, v47, v201
	v_add_f16_e64 v201, v47, v51
	v_add_f16_e32 v51, v47, v58
	v_add_f16_e32 v47, v49, v48
	v_mul_f16_e64 v58, 0xba62, v141
	v_add_f16_e64 v133, v133, v134
	v_mul_f16_e64 v134, 0xb964, v141
	v_mul_f16_e64 v136, 0x35c8, v157
	v_add_f16_e32 v50, v50, v47
	v_fma_f16 v47, 0x3722, v167, v57
	v_fma_f16 v48, 0xb8d2, v169, v58
	v_fma_f16 v57, v167, 0x3722, -v57
	v_fma_f16 v58, v169, 0xb8d2, -v58
	v_add_f16_e64 v132, v132, v133
	v_add_f16_e32 v47, v45, v47
	v_sub_f16_e64 v134, v149, v134
	v_add_f16_e32 v57, v45, v57
	v_mul_f16_e64 v133, 0x39e9, v140
	v_add_f16_e64 v131, v131, v132
	v_add_f16_e32 v47, v48, v47
	v_fma_f16 v48, v140, 0xb8d2, -v203
	v_add_f16_e32 v57, v58, v57
	v_mul_f16_e64 v132, 0xbb29, v143
	v_add_f16_e64 v122, v122, v131
	v_add_f16_e64 v133, v133, v90
	v_add_f16_e32 v48, v48, v61
	v_mul_f16_e64 v61, 0x31e1, v143
	v_fmac_f16_e64 v203, 0xb8d2, v140
	v_add_f16_e64 v122, v130, v122
	v_add_f16_e64 v133, v133, v202
	v_mul_f16_e64 v130, 0x2de8, v144
	v_fma_f16 v49, 0xbbdd, v180, v61
	v_fma_f16 v58, v180, 0xbbdd, -v61
	v_mul_f16_e64 v61, 0x35c8, v184
	v_add_f16_e64 v122, v128, v122
	v_add_f16_e64 v130, v130, v156
	v_add_f16_e32 v47, v49, v47
	v_fma_f16 v49, 0xb461, v185, v204
	v_add_f16_e32 v57, v58, v57
	v_add_f16_e32 v122, v127, v122
	v_fma_f16 v58, v185, 0xb461, -v204
	v_mul_f16_e64 v127, 0xba62, v150
	v_add_f16_e32 v47, v49, v47
	v_fma_f16 v49, 0x39e9, v189, v205
	v_add_f16_e32 v122, v126, v122
	v_add_f16_e32 v57, v58, v57
	v_sub_f16_e64 v127, v163, v127
	v_fma_f16 v58, v189, 0x39e9, -v205
	v_add_f16_e32 v47, v49, v47
	v_fma_f16 v49, 0x3b76, v194, v206
	v_add_f16_e32 v122, v125, v122
	v_mul_f16_e64 v125, 0xbacd, v151
	v_add_f16_e32 v57, v58, v57
	v_fma_f16 v58, v194, 0x3b76, -v206
	v_add_f16_e32 v47, v49, v47
	v_fma_f16 v49, v142, 0xbbdd, -v207
	v_add_f16_e32 v122, v124, v122
	v_mul_f16_e64 v124, 0xb1e1, v157
	v_add_f16_e32 v57, v58, v57
	v_fma_f16 v58, v196, 0x2de8, -v208
	v_add_f16_e32 v48, v49, v48
	v_fma_f16 v49, 0x2de8, v196, v208
	v_add_f16_e32 v122, v123, v122
	v_mul_f16_e64 v123, 0xbbdd, v153
	v_sub_f16_e64 v124, v176, v124
	v_add_f16_e32 v57, v58, v57
	v_add_f16_e32 v47, v49, v47
	v_fma_f16 v49, v144, 0xb461, -v209
	v_fma_f16 v58, v198, 0xbacd, -v210
	v_add_f16_e64 v50, v129, v50
	v_add_f16_e64 v53, v203, v53
	v_fmac_f16_e64 v207, 0xbbdd, v142
	v_add_f16_e32 v48, v49, v48
	v_fma_f16 v49, 0xbacd, v198, v210
	v_add_f16_e32 v57, v58, v57
	v_mul_f16_e64 v58, 0xbbf7, v141
	v_add_f16_e64 v53, v207, v53
	v_fmac_f16_e64 v209, 0xb461, v144
	v_add_f16_e32 v47, v49, v47
	v_fma_f16 v49, v146, 0x39e9, -v211
	v_sub_f16_e64 v58, v166, v58
	v_mul_f16_e64 v166, 0x2de8, v140
	v_add_f16_e64 v53, v209, v53
	scratch_store_b32 off, v47, off         ; 4-byte Folded Spill
	v_add_f16_e32 v48, v49, v48
	v_fma_f16 v49, v148, 0x3b76, -v212
	v_add_f16_e64 v164, v166, v164
	v_mul_f16_e64 v166, 0xb8d2, v142
	v_fmac_f16_e64 v211, 0x39e9, v146
	v_fmac_f16_e64 v212, 0x3b76, v148
	v_add_f16_e32 v48, v49, v48
	v_fma_f16 v49, 0xb8d2, v167, v213
	v_fma_f16 v213, v167, 0xb8d2, -v213
	v_add_f16_e64 v164, v164, v201
	v_add_f16_e64 v166, v166, v165
	;; [unrolled: 1-line block ×3, first 2 shown]
	v_add_f16_e32 v49, v45, v49
	v_add_f16_e64 v213, v45, v213
	v_add_f16_e64 v122, v138, v122
	;; [unrolled: 1-line block ×3, first 2 shown]
	v_mul_f16_e64 v166, 0xbbdd, v144
	v_add_f16_e64 v49, v215, v49
	v_mul_f16_e64 v215, 0xbbf7, v195
	v_add_f16_e64 v213, v214, v213
	;; [unrolled: 2-line block ×3, first 2 shown]
	v_add_f16_e64 v53, v212, v53
	v_fma_f16 v216, v151, 0x2de8, -v215
	v_fmac_f16_e64 v215, 0x2de8, v151
	v_sub_f16_e64 v136, v190, v136
	v_add_f16_e64 v164, v166, v164
	v_mul_f16_e64 v166, 0xbacd, v146
	v_add_f16_e64 v48, v216, v48
	v_mul_f16_e64 v216, 0xb5c8, v143
	v_mov_b32_e32 v191, v87
	v_dual_mov_b32 v87, v84 :: v_dual_mov_b32 v84, v223
	v_mov_b32_e32 v193, v113
	s_delay_alu instid0(VALU_DEP_4)
	v_fma_f16 v217, 0x3b76, v180, v216
	v_fma_f16 v216, v180, 0x3b76, -v216
	v_mov_b32_e32 v113, v111
	v_mov_b32_e32 v111, v109
	;; [unrolled: 1-line block ×3, first 2 shown]
	v_add_f16_e64 v49, v217, v49
	v_mul_f16_e64 v217, 0xb836, v197
	v_add_f16_e64 v213, v216, v213
	v_mov_b32_e32 v107, v105
	v_mov_b32_e32 v105, v103
	;; [unrolled: 1-line block ×3, first 2 shown]
	v_fma_f16 v218, v153, 0xbacd, -v217
	v_mov_b32_e32 v101, v99
	v_mov_b32_e32 v99, v97
	;; [unrolled: 1-line block ×5, first 2 shown]
	v_add_f16_e64 v47, v218, v48
	v_mul_f16_e64 v218, 0xb836, v145
	v_mov_b32_e32 v48, v114
	v_mov_b32_e32 v114, v112
	v_mov_b32_e32 v112, v110
	scratch_store_b32 off, v47, off offset:4 ; 4-byte Folded Spill
	v_fma_f16 v219, 0xbacd, v185, v218
	v_dual_mov_b32 v47, v82 :: v_dual_mov_b32 v82, v222
	v_mov_b32_e32 v110, v108
	v_fma_f16 v216, v185, 0xbacd, -v218
	s_delay_alu instid0(VALU_DEP_4)
	v_add_f16_e64 v49, v219, v49
	v_mul_f16_e64 v219, 0x3bf7, v147
	v_mov_b32_e32 v108, v106
	v_mov_b32_e32 v106, v104
	v_add_f16_e64 v213, v216, v213
	v_mul_f16_e64 v216, 0x3964, v195
	v_fma_f16 v220, 0x2de8, v189, v219
	v_mov_b32_e32 v104, v102
	v_mov_b32_e32 v102, v100
	;; [unrolled: 1-line block ×3, first 2 shown]
	v_fma_f16 v218, 0x39e9, v151, v216
	v_add_f16_e64 v49, v220, v49
	v_mul_f16_e64 v220, 0x3bb2, v172
	v_mov_b32_e32 v98, v96
	v_mov_b32_e32 v96, v94
	;; [unrolled: 1-line block ×4, first 2 shown]
	v_fma_f16 v221, v140, 0xb461, -v220
	v_fmac_f16_e64 v220, 0xb461, v140
	v_dual_mov_b32 v88, v85 :: v_dual_mov_b32 v91, v89
	v_mov_b32_e32 v89, v86
	s_delay_alu instid0(VALU_DEP_4) | instskip(SKIP_4) | instid1(VALU_DEP_4)
	v_add_f16_e64 v60, v221, v60
	v_mul_f16_e64 v221, 0xb964, v150
	v_add_f16_e64 v55, v220, v55
	v_dual_mov_b32 v86, v83 :: v_dual_mov_b32 v83, v81
	v_mov_b32_e32 v81, v74
	v_fma_f16 v222, 0x39e9, v194, v221
	v_dual_mov_b32 v74, v73 :: v_dual_mov_b32 v73, v72
	v_dual_mov_b32 v72, v71 :: v_dual_mov_b32 v71, v70
	s_delay_alu instid0(VALU_DEP_3) | instskip(SKIP_4) | instid1(VALU_DEP_4)
	v_add_f16_e64 v49, v222, v49
	v_mul_f16_e64 v222, 0xb5c8, v178
	v_mov_b32_e32 v70, v80
	v_dual_mov_b32 v80, v79 :: v_dual_mov_b32 v79, v78
	v_mov_b32_e32 v78, v77
	v_fma_f16 v223, v142, 0x3b76, -v222
	v_fmac_f16_e64 v222, 0x3b76, v142
	v_dual_mov_b32 v77, v76 :: v_dual_mov_b32 v76, v65
	v_dual_mov_b32 v85, v24 :: v_dual_mov_b32 v24, v174
	s_delay_alu instid0(VALU_DEP_4)
	v_add_f16_e64 v60, v223, v60
	v_mul_f16_e64 v223, 0xb1e1, v154
	v_add_f16_e64 v55, v222, v55
	v_mov_b32_e32 v174, v168
	v_mov_b32_e32 v168, v160
	;; [unrolled: 1-line block ×3, first 2 shown]
	v_fma_f16 v224, 0xbbdd, v196, v223
	v_mov_b32_e32 v155, v75
	v_add_f16_e32 v123, v123, v24
	v_mov_b32_e32 v24, v85
	v_sub_f16_e64 v132, v160, v132
	v_add_f16_e64 v49, v224, v49
	v_mul_f16_e64 v224, 0xb836, v184
	v_sub_f16_e64 v135, v155, v135
	v_mov_b32_e32 v85, v88
	v_add_f16_e64 v125, v125, v174
	v_add_f16_e64 v166, v166, v177
	v_fma_f16 v225, v144, 0xbacd, -v224
	v_fmac_f16_e64 v224, 0xbacd, v144
	v_add_f16_e64 v135, v45, v135
	v_add_f16_e64 v53, v215, v53
	;; [unrolled: 1-line block ×4, first 2 shown]
	v_mul_f16_e64 v225, 0x3b29, v157
	v_add_f16_e64 v55, v224, v55
	v_add_f16_e64 v134, v134, v135
	v_mul_f16_e64 v135, 0x3722, v142
	v_mul_f16_e64 v166, 0xb461, v148
	v_fma_f16 v226, 0x3722, v198, v225
	v_fmac_f16_e64 v217, 0xbacd, v153
	v_add_f16_e64 v131, v132, v134
	v_mul_f16_e64 v132, 0xbbf7, v145
	v_add_f16_e64 v135, v135, v152
	v_add_f16_e64 v49, v226, v49
	v_mul_f16_e64 v226, 0x3bf7, v188
	v_add_f16_e64 v166, v166, v182
	v_sub_f16_e64 v132, v158, v132
	v_add_f16_e64 v133, v135, v133
	v_add_f16_e64 v122, v137, v122
	v_fma_f16 v227, v146, 0x2de8, -v226
	v_fmac_f16_e64 v226, 0x2de8, v146
	v_add_f16_e64 v131, v132, v131
	v_mul_f16_e64 v132, 0xbbb2, v147
	v_add_f16_e64 v128, v130, v133
	v_add_f16_e64 v60, v227, v60
	v_mul_f16_e64 v227, 0xb964, v192
	v_add_f16_e64 v55, v226, v55
	v_sub_f16_e64 v132, v168, v132
	v_mul_f16_e64 v130, 0xb461, v146
	v_add_f16_e64 v164, v166, v164
	v_fma_f16 v228, v148, 0x39e9, -v227
	v_fmac_f16_e64 v227, 0x39e9, v148
	v_add_f16_e64 v131, v132, v131
	v_add_f16_e64 v130, v130, v159
	v_mul_f16_e64 v166, 0x3722, v151
	v_add_f16_e64 v60, v228, v60
	v_mul_f16_e64 v228, 0xb1e1, v139
	v_add_f16_e64 v55, v227, v55
	v_add_f16_e64 v126, v127, v131
	v_mul_f16_e64 v127, 0xb836, v154
	v_add_f16_e64 v128, v130, v128
	v_fma_f16 v229, 0xbbdd, v167, v228
	v_fma_f16 v228, v167, 0xbbdd, -v228
	v_mul_f16_e64 v130, 0xb8d2, v148
	v_sub_f16_e64 v127, v171, v127
	v_add_f16_e64 v166, v166, v186
	v_add_f16_e64 v229, v45, v229
	;; [unrolled: 1-line block ×4, first 2 shown]
	v_add_f16_e32 v126, v127, v126
	v_add_f16_e64 v53, v217, v53
	v_add_f16_e64 v229, v231, v229
	v_mul_f16_e64 v231, 0xb1e1, v195
	v_add_f16_e64 v228, v230, v228
	v_mul_f16_e64 v230, 0xbbb2, v154
	v_add_f16_e32 v124, v124, v126
	v_add_f16_e64 v128, v130, v128
	v_fma_f16 v232, v151, 0xbbdd, -v231
	v_fmac_f16_e64 v231, 0xbbdd, v151
	v_mov_b32_e32 v88, v92
	v_mov_b32_e32 v92, v94
	v_add_f16_e64 v125, v125, v128
	v_add_f16_e64 v60, v232, v60
	v_mul_f16_e64 v232, 0xb836, v143
	v_add_f16_e64 v55, v231, v55
	v_pack_b32_f16 v50, v50, v122
	v_add_f16_e32 v123, v123, v125
	v_pack_b32_f16 v53, v53, v57
	v_fma_f16 v233, 0xbacd, v180, v232
	v_fma_f16 v232, v180, 0xbacd, -v232
	v_mov_b32_e32 v94, v96
	v_pack_b32_f16 v123, v123, v124
	v_mov_b32_e32 v96, v98
	v_add_f16_e64 v229, v233, v229
	v_mul_f16_e64 v233, 0x3b29, v197
	v_add_f16_e64 v228, v232, v228
	v_mul_f16_e64 v232, 0x3bf7, v157
	v_mov_b32_e32 v98, v100
	v_mov_b32_e32 v100, v102
	v_fma_f16 v234, v153, 0x3722, -v233
	v_fmac_f16_e64 v233, 0x3722, v153
	v_mov_b32_e32 v102, v104
	v_mov_b32_e32 v104, v106
	;; [unrolled: 1-line block ×3, first 2 shown]
	v_add_f16_e64 v60, v234, v60
	v_mul_f16_e64 v234, 0x3964, v145
	v_add_f16_e64 v55, v233, v55
	v_mov_b32_e32 v108, v110
	v_mov_b32_e32 v110, v112
	;; [unrolled: 1-line block ×3, first 2 shown]
	v_fma_f16 v235, 0x39e9, v185, v234
	v_fma_f16 v234, v185, 0x39e9, -v234
	v_mov_b32_e32 v114, v48
	v_pack_b32_f16 v49, v60, v49
	s_delay_alu instid0(VALU_DEP_4) | instskip(SKIP_2) | instid1(VALU_DEP_2)
	v_add_f16_e64 v229, v235, v229
	v_mul_f16_e64 v235, 0xba62, v147
	v_add_f16_e64 v228, v234, v228
	v_fma_f16 v236, 0xb8d2, v189, v235
	v_fma_f16 v234, v189, 0xb8d2, -v235
	s_delay_alu instid0(VALU_DEP_2) | instskip(SKIP_1) | instid1(VALU_DEP_3)
	v_add_f16_e64 v229, v236, v229
	v_mul_f16_e64 v236, 0x35c8, v172
	v_add_f16_e64 v228, v234, v228
	v_mul_f16_e64 v234, 0xbbb2, v195
	s_delay_alu instid0(VALU_DEP_3) | instskip(SKIP_1) | instid1(VALU_DEP_3)
	v_fma_f16 v237, v140, 0x3b76, -v236
	v_fmac_f16_e64 v236, 0x3b76, v140
	v_fma_f16 v235, v151, 0xb461, -v234
	v_fmac_f16_e64 v234, 0xb461, v151
	s_delay_alu instid0(VALU_DEP_4) | instskip(SKIP_2) | instid1(VALU_DEP_2)
	v_add_f16_e64 v59, v237, v59
	v_mul_f16_e64 v237, 0x3b29, v150
	v_add_f16_e64 v54, v236, v54
	v_fma_f16 v238, 0x3722, v194, v237
	s_delay_alu instid0(VALU_DEP_1) | instskip(SKIP_1) | instid1(VALU_DEP_1)
	v_add_f16_e64 v229, v238, v229
	v_mul_f16_e64 v238, 0xb836, v178
	v_fma_f16 v239, v142, 0xbacd, -v238
	v_fmac_f16_e64 v238, 0xbacd, v142
	s_delay_alu instid0(VALU_DEP_2) | instskip(SKIP_1) | instid1(VALU_DEP_3)
	v_add_f16_e64 v59, v239, v59
	v_mul_f16_e64 v239, 0x3964, v184
	v_add_f16_e64 v54, v238, v54
	s_delay_alu instid0(VALU_DEP_2) | instskip(SKIP_1) | instid1(VALU_DEP_2)
	v_fma_f16 v240, v144, 0x39e9, -v239
	v_fmac_f16_e64 v239, 0x39e9, v144
	v_add_f16_e64 v59, v240, v59
	v_fma_f16 v240, 0xb461, v196, v230
	v_fma_f16 v230, v196, 0xb461, -v230
	s_delay_alu instid0(VALU_DEP_4) | instskip(NEXT) | instid1(VALU_DEP_3)
	v_add_f16_e64 v54, v239, v54
	v_add_f16_e64 v229, v240, v229
	v_mul_f16_e64 v240, 0xba62, v188
	s_delay_alu instid0(VALU_DEP_1) | instskip(SKIP_1) | instid1(VALU_DEP_2)
	v_fma_f16 v241, v146, 0xb8d2, -v240
	v_fmac_f16_e64 v240, 0xb8d2, v146
	v_add_f16_e64 v59, v241, v59
	v_fma_f16 v241, 0x2de8, v198, v232
	s_delay_alu instid0(VALU_DEP_3) | instskip(NEXT) | instid1(VALU_DEP_2)
	v_add_f16_e64 v54, v240, v54
	v_add_f16_e64 v229, v241, v229
	v_mul_f16_e64 v241, 0x3b29, v192
	s_delay_alu instid0(VALU_DEP_1) | instskip(SKIP_1) | instid1(VALU_DEP_2)
	v_fma_f16 v242, v148, 0x3722, -v241
	v_fmac_f16_e64 v241, 0x3722, v148
	v_add_f16_e64 v59, v242, v59
	s_delay_alu instid0(VALU_DEP_2) | instskip(NEXT) | instid1(VALU_DEP_2)
	v_add_f16_e64 v54, v241, v54
	v_add_f16_e64 v59, v235, v59
	v_fma_f16 v235, v194, 0x3722, -v237
	s_delay_alu instid0(VALU_DEP_3) | instskip(SKIP_1) | instid1(VALU_DEP_3)
	v_add_f16_e64 v54, v234, v54
	v_mul_f16_e64 v234, 0xb8d2, v185
	v_add_f16_e64 v228, v235, v228
	v_mul_f16_e64 v235, 0x3bf7, v197
	s_delay_alu instid0(VALU_DEP_2) | instskip(SKIP_1) | instid1(VALU_DEP_3)
	v_add_f16_e64 v228, v230, v228
	v_fma_f16 v230, v198, 0x2de8, -v232
	v_fma_f16 v236, v153, 0x2de8, -v235
	v_fmac_f16_e64 v235, 0x2de8, v153
	s_delay_alu instid0(VALU_DEP_3) | instskip(SKIP_1) | instid1(VALU_DEP_4)
	v_add_f16_e64 v228, v230, v228
	v_mul_f16_e64 v230, 0xbacd, v167
	v_add_f16_e64 v59, v236, v59
	v_mul_f16_e64 v236, 0x3722, v169
	;; [unrolled: 2-line block ×3, first 2 shown]
	v_fma_f16 v232, 0x3836, v139, v230
	v_fmac_f16_e64 v230, 0xb836, v139
	v_fma_f16 v237, 0xbb29, v141, v236
	v_fmac_f16_e64 v236, 0x3b29, v141
	s_delay_alu instid0(VALU_DEP_4) | instskip(NEXT) | instid1(VALU_DEP_4)
	v_add_f16_e64 v232, v45, v232
	v_add_f16_e64 v125, v45, v230
	s_delay_alu instid0(VALU_DEP_2) | instskip(SKIP_1) | instid1(VALU_DEP_3)
	v_add_f16_e64 v232, v237, v232
	v_mul_f16_e64 v237, 0x2de8, v180
	v_add_f16_e64 v125, v236, v125
	s_delay_alu instid0(VALU_DEP_2) | instskip(SKIP_1) | instid1(VALU_DEP_2)
	v_fma_f16 v238, 0x3bf7, v143, v237
	v_fmac_f16_e64 v237, 0xbbf7, v143
	v_add_f16_e64 v232, v238, v232
	v_fma_f16 v238, 0xba62, v145, v234
	s_delay_alu instid0(VALU_DEP_3) | instskip(SKIP_1) | instid1(VALU_DEP_3)
	v_add_f16_e64 v125, v237, v125
	v_fmac_f16_e64 v234, 0x3a62, v145
	v_add_f16_e64 v232, v238, v232
	v_mul_f16_e64 v238, 0x3b76, v189
	s_delay_alu instid0(VALU_DEP_3) | instskip(NEXT) | instid1(VALU_DEP_2)
	v_add_f16_e64 v125, v234, v125
	v_fma_f16 v239, 0x35c8, v147, v238
	v_fmac_f16_e64 v238, 0xb5c8, v147
	s_delay_alu instid0(VALU_DEP_2) | instskip(SKIP_1) | instid1(VALU_DEP_3)
	v_add_f16_e64 v232, v239, v232
	v_mul_f16_e64 v239, 0x3b29, v172
	v_add_f16_e64 v125, v238, v125
	s_delay_alu instid0(VALU_DEP_2) | instskip(SKIP_1) | instid1(VALU_DEP_2)
	v_fma_f16 v240, 0x3722, v140, v239
	v_fma_f16 v126, v140, 0x3722, -v239
	v_add_f16_e64 v62, v240, v62
	v_fma_f16 v240, 0x31e1, v150, v235
	s_delay_alu instid0(VALU_DEP_3) | instskip(SKIP_1) | instid1(VALU_DEP_3)
	v_add_f16_e32 v56, v126, v56
	v_fmac_f16_e64 v235, 0xb1e1, v150
	v_add_f16_e64 v232, v240, v232
	v_mul_f16_e64 v240, 0xbbf7, v178
	s_delay_alu instid0(VALU_DEP_3) | instskip(NEXT) | instid1(VALU_DEP_2)
	v_add_f16_e64 v125, v235, v125
	v_fma_f16 v241, 0x2de8, v142, v240
	v_fma_f16 v126, v142, 0x2de8, -v240
	s_delay_alu instid0(VALU_DEP_2) | instskip(SKIP_1) | instid1(VALU_DEP_3)
	v_add_f16_e64 v62, v241, v62
	v_mul_f16_e64 v241, 0x3a62, v184
	v_add_f16_e32 v56, v126, v56
	s_delay_alu instid0(VALU_DEP_2) | instskip(SKIP_1) | instid1(VALU_DEP_2)
	v_fma_f16 v242, 0xb8d2, v144, v241
	v_fma_f16 v128, v144, 0xb8d2, -v241
	v_add_f16_e64 v62, v242, v62
	v_mul_f16_e64 v242, 0x39e9, v196
	s_delay_alu instid0(VALU_DEP_3) | instskip(NEXT) | instid1(VALU_DEP_2)
	v_add_f16_e64 v56, v128, v56
	v_fma_f16 v243, 0xb964, v154, v242
	v_fmac_f16_e64 v242, 0x3964, v154
	s_delay_alu instid0(VALU_DEP_2) | instskip(SKIP_1) | instid1(VALU_DEP_3)
	v_add_f16_e64 v232, v243, v232
	v_mul_f16_e64 v243, 0xb5c8, v188
	v_add_f16_e64 v125, v242, v125
	s_delay_alu instid0(VALU_DEP_2) | instskip(SKIP_1) | instid1(VALU_DEP_2)
	v_fma_f16 v244, 0x3b76, v146, v243
	v_fma_f16 v128, v146, 0x3b76, -v243
	v_add_f16_e64 v62, v244, v62
	v_fma_f16 v244, 0x3bb2, v157, v214
	s_delay_alu instid0(VALU_DEP_3) | instskip(SKIP_1) | instid1(VALU_DEP_3)
	v_add_f16_e64 v56, v128, v56
	v_fmac_f16_e64 v214, 0xbbb2, v157
	v_add_f16_e64 v232, v244, v232
	v_mul_f16_e64 v244, 0xb1e1, v192
	s_delay_alu instid0(VALU_DEP_3) | instskip(NEXT) | instid1(VALU_DEP_2)
	v_add_f16_e64 v125, v214, v125
	v_fma_f16 v245, 0xbbdd, v148, v244
	v_fma_f16 v128, v148, 0xbbdd, -v244
	s_delay_alu instid0(VALU_DEP_2) | instskip(NEXT) | instid1(VALU_DEP_2)
	v_add_f16_e64 v62, v245, v62
	v_add_f16_e64 v56, v128, v56
	v_fma_f16 v128, v151, 0x39e9, -v216
	s_delay_alu instid0(VALU_DEP_3) | instskip(SKIP_1) | instid1(VALU_DEP_3)
	v_add_f16_e64 v62, v218, v62
	v_fma_f16 v218, v189, 0x2de8, -v219
	v_add_f16_e64 v56, v128, v56
	s_delay_alu instid0(VALU_DEP_2) | instskip(SKIP_1) | instid1(VALU_DEP_1)
	v_add_f16_e64 v213, v218, v213
	v_mul_f16_e64 v218, 0xbbb2, v197
	v_fma_f16 v219, 0xb461, v153, v218
	v_fma_f16 v128, v153, 0xb461, -v218
	s_delay_alu instid0(VALU_DEP_2)
	v_add_f16_e64 v62, v219, v62
	v_fma_f16 v219, v194, 0x39e9, -v221
	v_mul_f16_e64 v221, 0xbacd, v169
	v_mul_f16_e64 v169, 0x3bb2, v178
	v_add_f16_e64 v56, v128, v56
	v_pack_b32_f16 v62, v62, v232
	v_add_f16_e64 v213, v219, v213
	v_fma_f16 v219, v196, 0xbbdd, -v223
	v_fma_f16 v222, 0xb836, v141, v221
	v_fmac_f16_e64 v221, 0x3836, v141
	s_delay_alu instid0(VALU_DEP_3) | instskip(SKIP_1) | instid1(VALU_DEP_1)
	v_add_f16_e64 v213, v219, v213
	v_mul_f16_e64 v219, 0xb461, v167
	v_fma_f16 v220, 0x3bb2, v139, v219
	v_fmac_f16_e64 v219, 0xbbb2, v139
	s_delay_alu instid0(VALU_DEP_2) | instskip(NEXT) | instid1(VALU_DEP_2)
	v_add_f16_e64 v220, v45, v220
	v_add_f16_e64 v126, v45, v219
	s_delay_alu instid0(VALU_DEP_2) | instskip(SKIP_1) | instid1(VALU_DEP_3)
	v_add_f16_e64 v220, v222, v220
	v_mul_f16_e64 v222, 0x39e9, v180
	v_add_f16_e64 v126, v221, v126
	s_delay_alu instid0(VALU_DEP_2) | instskip(SKIP_1) | instid1(VALU_DEP_2)
	v_fma_f16 v223, 0xb964, v143, v222
	v_fmac_f16_e64 v222, 0x3964, v143
	v_add_f16_e64 v220, v223, v220
	v_fma_f16 v223, v198, 0x3722, -v225
	s_delay_alu instid0(VALU_DEP_3) | instskip(SKIP_2) | instid1(VALU_DEP_4)
	v_add_f16_e64 v126, v222, v126
	v_mov_b32_e32 v222, v82
	v_mov_b32_e32 v82, v47
	v_add_f16_e64 v213, v223, v213
	v_mul_f16_e64 v223, 0x3722, v185
	s_delay_alu instid0(VALU_DEP_2) | instskip(NEXT) | instid1(VALU_DEP_2)
	v_pack_b32_f16 v55, v55, v213
	v_fma_f16 v224, 0x3b29, v145, v223
	v_fmac_f16_e64 v223, 0xbb29, v145
	s_delay_alu instid0(VALU_DEP_2) | instskip(SKIP_1) | instid1(VALU_DEP_3)
	v_add_f16_e64 v220, v224, v220
	v_mul_f16_e64 v224, 0xbbdd, v189
	v_add_f16_e64 v126, v223, v126
	v_dual_mov_b32 v223, v84 :: v_dual_mov_b32 v84, v87
	v_mov_b32_e32 v87, v191
	s_delay_alu instid0(VALU_DEP_4) | instskip(SKIP_1) | instid1(VALU_DEP_2)
	v_fma_f16 v225, 0x31e1, v147, v224
	v_fmac_f16_e64 v224, 0xb1e1, v147
	v_add_f16_e64 v220, v225, v220
	v_mul_f16_e64 v225, 0x2de8, v194
	s_delay_alu instid0(VALU_DEP_3) | instskip(NEXT) | instid1(VALU_DEP_2)
	v_add_f16_e64 v126, v224, v126
	v_fma_f16 v226, 0xbbf7, v150, v225
	v_fmac_f16_e64 v225, 0x3bf7, v150
	s_delay_alu instid0(VALU_DEP_2) | instskip(SKIP_1) | instid1(VALU_DEP_3)
	v_add_f16_e64 v220, v226, v220
	v_mul_f16_e64 v226, 0x3836, v172
	v_add_f16_e64 v126, v225, v126
	s_delay_alu instid0(VALU_DEP_2) | instskip(SKIP_1) | instid1(VALU_DEP_2)
	v_fma_f16 v227, 0xbacd, v140, v226
	v_fma_f16 v128, v140, 0xbacd, -v226
	v_add_f16_e64 v199, v227, v199
	v_mul_f16_e64 v227, 0x3b76, v196
	s_delay_alu instid0(VALU_DEP_3) | instskip(NEXT) | instid1(VALU_DEP_2)
	v_add_f16_e64 v52, v128, v52
	v_fma_f16 v231, 0x35c8, v154, v227
	v_fmac_f16_e64 v227, 0xb5c8, v154
	s_delay_alu instid0(VALU_DEP_2) | instskip(SKIP_2) | instid1(VALU_DEP_4)
	v_add_f16_e64 v220, v231, v220
	v_mul_f16_e64 v231, 0x3964, v178
	v_fma_f16 v178, 0xb461, v142, v169
	v_add_f16_e64 v126, v227, v126
	s_delay_alu instid0(VALU_DEP_3) | instskip(SKIP_1) | instid1(VALU_DEP_2)
	v_fma_f16 v233, 0x39e9, v142, v231
	v_fma_f16 v129, v142, 0x39e9, -v231
	v_add_f16_e64 v199, v233, v199
	v_mul_f16_e64 v233, 0xbb29, v184
	s_delay_alu instid0(VALU_DEP_3) | instskip(NEXT) | instid1(VALU_DEP_2)
	v_add_f16_e64 v52, v129, v52
	v_fma_f16 v245, 0x3722, v144, v233
	v_fma_f16 v129, v144, 0x3722, -v233
	s_delay_alu instid0(VALU_DEP_2) | instskip(SKIP_1) | instid1(VALU_DEP_3)
	v_add_f16_e64 v199, v245, v199
	v_mul_f16_e64 v245, 0xb1e1, v188
	v_add_f16_e64 v52, v129, v52
	s_delay_alu instid0(VALU_DEP_2) | instskip(NEXT) | instid1(VALU_DEP_1)
	v_fma_f16 v246, 0xbbdd, v146, v245
	v_add_f16_e64 v199, v246, v199
	v_mul_f16_e64 v246, 0x2de8, v167
	v_mul_f16_e64 v167, 0xb1e1, v172
	s_delay_alu instid0(VALU_DEP_2) | instskip(NEXT) | instid1(VALU_DEP_2)
	v_fma_f16 v247, 0x3bf7, v139, v246
	v_fma_f16 v172, 0xbbdd, v140, v167
	v_fma_f16 v128, v140, 0xbbdd, -v167
	v_fmac_f16_e64 v246, 0xbbf7, v139
	s_delay_alu instid0(VALU_DEP_4) | instskip(NEXT) | instid1(VALU_DEP_4)
	v_add_f16_e64 v247, v45, v247
	v_add_f16_e64 v172, v172, v200
	s_delay_alu instid0(VALU_DEP_4) | instskip(SKIP_1) | instid1(VALU_DEP_4)
	v_add_f16_e64 v51, v128, v51
	v_fma_f16 v128, v142, 0xb461, -v169
	v_add_f16_e64 v247, v249, v247
	v_mul_f16_e64 v249, 0x3bf7, v192
	v_add_f16_e64 v172, v178, v172
	v_fma_f16 v178, 0x3b76, v144, v61
	v_add_f16_e64 v51, v128, v51
	v_fma_f16 v61, v144, 0x3b76, -v61
	v_fma_f16 v250, 0x2de8, v148, v249
	v_fma_f16 v128, v146, 0xbbdd, -v245
	v_add_f16_e64 v172, v178, v172
	v_mul_f16_e64 v178, 0xb8d2, v196
	v_add_f16_e32 v51, v61, v51
	v_add_f16_e64 v199, v250, v199
	v_mul_f16_e64 v250, 0xb8d2, v198
	v_add_f16_e64 v52, v128, v52
	v_fma_f16 v128, v148, 0x2de8, -v249
	s_delay_alu instid0(VALU_DEP_3) | instskip(SKIP_1) | instid1(VALU_DEP_3)
	v_fma_f16 v251, 0x3a62, v157, v250
	v_fmac_f16_e64 v250, 0xba62, v157
	v_add_f16_e64 v52, v128, v52
	s_delay_alu instid0(VALU_DEP_3) | instskip(SKIP_4) | instid1(VALU_DEP_4)
	v_add_f16_e64 v220, v251, v220
	v_mul_f16_e64 v251, 0xb461, v180
	v_fma_f16 v180, 0xba62, v154, v178
	v_fmac_f16_e64 v178, 0x3a62, v154
	v_add_f16_e64 v126, v250, v126
	v_fma_f16 v252, 0xbbb2, v143, v251
	v_fmac_f16_e64 v251, 0x3bb2, v143
	s_delay_alu instid0(VALU_DEP_2) | instskip(SKIP_1) | instid1(VALU_DEP_1)
	v_add_f16_e64 v247, v252, v247
	v_mul_f16_e64 v252, 0xb5c8, v195
	v_fma_f16 v253, 0x3b76, v151, v252
	v_fma_f16 v128, v151, 0x3b76, -v252
	s_delay_alu instid0(VALU_DEP_2) | instskip(SKIP_1) | instid1(VALU_DEP_3)
	v_add_f16_e64 v199, v253, v199
	v_mul_f16_e64 v253, 0x3b76, v185
	v_add_f16_e64 v52, v128, v52
	s_delay_alu instid0(VALU_DEP_2) | instskip(SKIP_1) | instid1(VALU_DEP_2)
	v_fma_f16 v254, 0xb5c8, v145, v253
	v_fmac_f16_e64 v253, 0x35c8, v145
	v_add_f16_e64 v247, v254, v247
	v_mul_f16_e64 v254, 0x3722, v189
	s_delay_alu instid0(VALU_DEP_1) | instskip(SKIP_1) | instid1(VALU_DEP_2)
	v_fma_f16 v255, 0x3b29, v147, v254
	v_fmac_f16_e64 v254, 0xbb29, v147
	v_add_f16_e64 v247, v255, v247
	v_mul_f16_e64 v255, 0xba62, v197
	s_delay_alu instid0(VALU_DEP_1) | instskip(NEXT) | instid1(VALU_DEP_1)
	v_fma_f16 v65, 0xb8d2, v153, v255
	v_add_f16_e64 v65, v65, v199
	v_mul_f16_e64 v199, 0xbacd, v194
	s_delay_alu instid0(VALU_DEP_2) | instskip(NEXT) | instid1(VALU_DEP_2)
	v_pack_b32_f16 v57, v65, v220
	v_fma_f16 v75, 0x3836, v150, v199
	v_fmac_f16_e64 v199, 0xb836, v150
	s_delay_alu instid0(VALU_DEP_2) | instskip(NEXT) | instid1(VALU_DEP_1)
	v_add_f16_e64 v75, v75, v247
	v_add_f16_e64 v75, v180, v75
	v_mul_f16_e64 v180, 0xbb29, v188
	s_delay_alu instid0(VALU_DEP_1) | instskip(SKIP_1) | instid1(VALU_DEP_2)
	v_fma_f16 v184, 0x3722, v146, v180
	v_fma_f16 v61, v146, 0x3722, -v180
	v_add_f16_e64 v172, v184, v172
	v_mul_f16_e64 v184, 0x39e9, v198
	s_delay_alu instid0(VALU_DEP_3) | instskip(NEXT) | instid1(VALU_DEP_2)
	v_add_f16_e32 v51, v61, v51
	v_fma_f16 v185, 0xb964, v157, v184
	v_fmac_f16_e64 v184, 0x3964, v157
	s_delay_alu instid0(VALU_DEP_2) | instskip(SKIP_1) | instid1(VALU_DEP_1)
	v_add_f16_e64 v75, v185, v75
	v_mul_f16_e64 v185, 0xb836, v192
	v_fma_f16 v188, 0xbacd, v148, v185
	v_fma_f16 v61, v148, 0xbacd, -v185
	s_delay_alu instid0(VALU_DEP_2) | instskip(SKIP_1) | instid1(VALU_DEP_3)
	v_add_f16_e64 v172, v188, v172
	v_mul_f16_e64 v188, 0x3a62, v195
	v_add_f16_e32 v51, v61, v51
	v_fma_f16 v61, v153, 0xb8d2, -v255
	s_delay_alu instid0(VALU_DEP_3) | instskip(SKIP_1) | instid1(VALU_DEP_3)
	v_fma_f16 v189, 0xb8d2, v151, v188
	v_fma_f16 v128, v151, 0xb8d2, -v188
	v_add_f16_e32 v52, v61, v52
	v_dual_mov_b32 v76, v77 :: v_dual_and_b32 v61, 0xffff, v76
	s_delay_alu instid0(VALU_DEP_4) | instskip(SKIP_3) | instid1(VALU_DEP_3)
	v_add_f16_e64 v172, v189, v172
	v_mul_f16_e64 v189, 0x3964, v197
	v_dual_mov_b32 v77, v78 :: v_dual_mov_b32 v78, v79
	v_dual_mov_b32 v79, v80 :: v_dual_mov_b32 v80, v70
	v_fma_f16 v192, 0x39e9, v153, v189
	v_dual_mov_b32 v70, v71 :: v_dual_mov_b32 v71, v72
	v_dual_mov_b32 v72, v73 :: v_dual_lshlrev_b32 v61, 2, v61
	s_delay_alu instid0(VALU_DEP_3)
	v_add_f16_e64 v172, v192, v172
	v_mul_f16_e64 v192, 0xb964, v139
	v_add_f16_e64 v51, v128, v51
	v_fma_f16 v128, v153, 0x39e9, -v189
	v_mov_b32_e32 v73, v74
	v_pack_b32_f16 v65, v172, v75
	v_sub_f16_e64 v162, v162, v192
	v_mov_b32_e32 v74, v81
	v_add_f16_e64 v51, v128, v51
	v_mov_b32_e32 v81, v83
	v_mov_b32_e32 v83, v86
	v_add_f16_e64 v162, v45, v162
	v_add_f16_e64 v45, v45, v246
	v_dual_mov_b32 v86, v89 :: v_dual_mov_b32 v89, v91
	v_mov_b32_e32 v91, v93
	s_delay_alu instid0(VALU_DEP_4)
	v_add_f16_e64 v58, v58, v162
	v_mul_f16_e64 v162, 0xba62, v143
	v_add_f16_e64 v45, v248, v45
	v_mov_b32_e32 v93, v95
	v_mov_b32_e32 v95, v97
	;; [unrolled: 1-line block ×3, first 2 shown]
	v_sub_f16_e64 v162, v170, v162
	v_add_f16_e64 v45, v251, v45
	v_mov_b32_e32 v99, v101
	v_mov_b32_e32 v101, v103
	;; [unrolled: 1-line block ×3, first 2 shown]
	v_add_f16_e64 v58, v162, v58
	v_mul_f16_e64 v162, 0xb1e1, v145
	v_add_f16_e64 v45, v253, v45
	v_mov_b32_e32 v105, v107
	v_mov_b32_e32 v107, v109
	;; [unrolled: 1-line block ×3, first 2 shown]
	v_sub_f16_e64 v162, v175, v162
	v_add_f16_e64 v45, v254, v45
	v_mov_b32_e32 v111, v113
	v_mov_b32_e32 v113, v193
	s_delay_alu instid0(VALU_DEP_4) | instskip(SKIP_2) | instid1(VALU_DEP_2)
	v_add_f16_e64 v58, v162, v58
	v_mul_f16_e64 v162, 0x3836, v147
	v_add_f16_e64 v45, v199, v45
	v_sub_f16_e64 v162, v181, v162
	s_delay_alu instid0(VALU_DEP_2) | instskip(NEXT) | instid1(VALU_DEP_2)
	v_add_f16_e64 v45, v178, v45
	v_add_f16_e64 v58, v162, v58
	v_mul_f16_e64 v162, 0x3bb2, v150
	s_delay_alu instid0(VALU_DEP_3) | instskip(NEXT) | instid1(VALU_DEP_2)
	v_add_f16_e64 v45, v184, v45
	v_sub_f16_e64 v162, v183, v162
	s_delay_alu instid0(VALU_DEP_2) | instskip(SKIP_2) | instid1(VALU_DEP_4)
	v_pack_b32_f16 v45, v51, v45
	v_pack_b32_f16 v51, v52, v126
	v_perm_b32 v52, v120, v41, 0x5040100
	v_add_f16_e64 v58, v162, v58
	v_mul_f16_e64 v162, 0x3b29, v154
	s_delay_alu instid0(VALU_DEP_1) | instskip(NEXT) | instid1(VALU_DEP_1)
	v_sub_f16_e64 v162, v187, v162
	v_add_f16_e64 v58, v162, v58
	v_add_f16_e64 v162, v166, v164
	v_mul_f16_e64 v164, 0x3b76, v153
	s_delay_alu instid0(VALU_DEP_3) | instskip(NEXT) | instid1(VALU_DEP_2)
	v_add_f16_e64 v58, v136, v58
	v_add_f16_e64 v164, v164, v179
	s_delay_alu instid0(VALU_DEP_1) | instskip(NEXT) | instid1(VALU_DEP_1)
	v_add_f16_e64 v127, v164, v162
	v_pack_b32_f16 v58, v127, v58
	ds_store_2addr_b32 v61, v50, v123 offset1:1
	ds_store_2addr_b32 v61, v58, v53 offset0:2 offset1:3
	ds_store_2addr_b32 v61, v65, v57 offset0:4 offset1:5
	;; [unrolled: 1-line block ×3, first 2 shown]
	s_clause 0x1
	scratch_load_b32 v47, off, off th:TH_LOAD_LU
	scratch_load_b32 v48, off, off offset:4 th:TH_LOAD_LU
	v_pack_b32_f16 v50, v59, v229
	v_pack_b32_f16 v53, v54, v228
	;; [unrolled: 1-line block ×3, first 2 shown]
	s_wait_loadcnt 0x0
	v_pack_b32_f16 v47, v48, v47
	v_perm_b32 v48, v121, v46, 0x5040100
	ds_store_2addr_b32 v61, v53, v50 offset0:8 offset1:9
	ds_store_2addr_b32 v61, v54, v49 offset0:10 offset1:11
	;; [unrolled: 1-line block ×4, first 2 shown]
	ds_store_b32 v61, v52 offset:64
.LBB0_17:
	s_wait_alu 0xfffe
	s_or_b32 exec_lo, exec_lo, s1
	v_add_nc_u32_e32 v47, 0x600, v66
	v_add_nc_u32_e32 v48, 0x1200, v66
	global_wb scope:SCOPE_SE
	s_wait_storecnt_dscnt 0x0
	s_barrier_signal -1
	s_barrier_wait -1
	global_inv scope:SCOPE_SE
	ds_load_2addr_b32 v[55:56], v47 offset0:92 offset1:211
	v_add_nc_u32_e32 v49, 0xa00, v66
	ds_load_2addr_b32 v[57:58], v48 offset0:38 offset1:157
	v_add_nc_u32_e32 v52, 0x200, v66
	v_add_nc_u32_e32 v50, 0x1600, v66
	;; [unrolled: 1-line block ×3, first 2 shown]
	ds_load_2addr_b32 v[59:60], v49 offset0:74 offset1:193
	ds_load_2addr_b32 v[53:54], v66 offset1:119
	ds_load_2addr_b32 v[61:62], v52 offset0:110 offset1:229
	ds_load_2addr_b32 v[122:123], v50 offset0:20 offset1:139
	;; [unrolled: 1-line block ×3, first 2 shown]
	ds_load_b32 v45, v66 offset:6664
	global_wb scope:SCOPE_SE
	s_wait_dscnt 0x0
	s_barrier_signal -1
	s_barrier_wait -1
	global_inv scope:SCOPE_SE
	v_lshrrev_b32_e32 v126, 16, v56
	v_mul_f16_e32 v90, v88, v56
	v_lshrrev_b32_e32 v127, 16, v57
	v_lshrrev_b32_e32 v129, 16, v58
	;; [unrolled: 1-line block ×3, first 2 shown]
	v_mul_f16_e64 v137, v88, v126
	v_lshrrev_b32_e32 v128, 16, v59
	v_mul_f16_e64 v140, v87, v127
	v_lshrrev_b32_e32 v131, 16, v60
	v_lshrrev_b32_e32 v132, 16, v122
	v_fmac_f16_e64 v137, v33, v56
	v_mul_f16_e32 v56, v87, v57
	v_mul_f16_e64 v88, v89, v128
	v_fmac_f16_e64 v140, v34, v57
	v_mul_f16_e32 v57, v89, v59
	v_lshrrev_b32_e32 v134, 16, v124
	v_fma_f16 v34, v34, v127, -v56
	v_mul_f16_e64 v56, v85, v129
	v_fmac_f16_e32 v88, v31, v59
	v_mul_f16_e32 v59, v85, v58
	v_fma_f16 v31, v31, v128, -v57
	v_mul_f16_e64 v57, v86, v131
	v_fmac_f16_e32 v56, v32, v58
	v_mul_f16_e32 v58, v86, v60
	v_lshrrev_b32_e32 v135, 16, v123
	v_fma_f16 v32, v32, v129, -v59
	v_mul_f16_e64 v59, v84, v132
	v_fmac_f16_e32 v57, v29, v60
	v_mul_f16_e32 v60, v84, v122
	v_lshrrev_b32_e32 v138, 16, v125
	v_fma_f16 v29, v29, v131, -v58
	v_mul_f16_e64 v58, v83, v134
	v_mul_f16_e32 v84, v83, v124
	v_lshrrev_b32_e32 v139, 16, v45
	v_fmac_f16_e32 v59, v30, v122
	v_fma_f16 v30, v30, v132, -v60
	v_mul_f16_e64 v60, v24, v135
	v_mul_f16_e32 v83, v24, v123
	v_fmac_f16_e32 v58, v27, v124
	v_fma_f16 v27, v27, v134, -v84
	v_mul_f16_e64 v84, v82, v138
	v_mul_f16_e32 v82, v82, v125
	v_fma_f16 v33, v33, v126, -v90
	v_fmac_f16_e32 v60, v28, v123
	v_fma_f16 v28, v28, v135, -v83
	v_mul_f16_e64 v83, v81, v139
	v_mul_f16_e32 v81, v81, v45
	v_lshrrev_b32_e32 v65, 16, v53
	v_fmac_f16_e32 v84, v25, v125
	v_fma_f16 v25, v25, v138, -v82
	v_add_f16_e64 v82, v137, v140
	v_fmac_f16_e32 v83, v26, v45
	v_fma_f16 v26, v26, v139, -v81
	v_add_f16_e32 v81, v33, v34
	v_add_f16_e64 v45, v53, v137
	v_fma_f16 v53, -0.5, v82, v53
	v_sub_f16_e32 v82, v33, v34
	v_add_f16_e32 v33, v65, v33
	v_fmac_f16_e32 v65, -0.5, v81
	v_sub_f16_e64 v81, v137, v140
	v_lshrrev_b32_e32 v75, 16, v54
	v_fmamk_f16 v85, v82, 0xbaee, v53
	v_add_f16_e32 v33, v33, v34
	v_add_f16_e32 v34, v88, v56
	v_fmac_f16_e32 v53, 0x3aee, v82
	v_fmamk_f16 v82, v81, 0x3aee, v65
	v_add_f16_e32 v86, v54, v88
	v_fmac_f16_e32 v65, 0xbaee, v81
	v_add_f16_e32 v81, v31, v32
	v_fmac_f16_e32 v54, -0.5, v34
	v_sub_f16_e32 v34, v31, v32
	v_add_f16_e32 v31, v75, v31
	v_add_f16_e32 v86, v86, v56
	v_fmac_f16_e32 v75, -0.5, v81
	v_sub_f16_e32 v56, v88, v56
	v_lshrrev_b32_e32 v130, 16, v61
	v_add_f16_e32 v31, v31, v32
	v_add_f16_e32 v32, v57, v59
	v_fmamk_f16 v81, v34, 0xbaee, v54
	v_fmac_f16_e32 v54, 0x3aee, v34
	v_fmamk_f16 v34, v56, 0x3aee, v75
	v_fmac_f16_e32 v75, 0xbaee, v56
	v_add_f16_e32 v56, v29, v30
	v_add_f16_e32 v87, v61, v57
	v_fma_f16 v32, -0.5, v32, v61
	v_sub_f16_e32 v61, v29, v30
	v_add_f16_e64 v29, v130, v29
	v_fmac_f16_e64 v130, -0.5, v56
	v_sub_f16_e32 v56, v57, v59
	v_lshrrev_b32_e32 v133, 16, v62
	v_add_f16_e32 v87, v87, v59
	v_add_f16_e32 v29, v29, v30
	;; [unrolled: 1-line block ×3, first 2 shown]
	v_fma_f16 v59, 0x3aee, v56, v130
	v_fmac_f16_e64 v130, 0xbaee, v56
	v_add_f16_e32 v56, v27, v28
	v_fmamk_f16 v57, v61, 0xbaee, v32
	v_fmac_f16_e32 v32, 0x3aee, v61
	v_add_f16_e32 v61, v62, v58
	v_fmac_f16_e32 v62, -0.5, v30
	v_sub_f16_e32 v30, v27, v28
	v_add_f16_e64 v27, v133, v27
	v_fmac_f16_e64 v133, -0.5, v56
	v_sub_f16_e32 v56, v58, v60
	v_add_f16_e64 v45, v45, v140
	v_fmamk_f16 v58, v30, 0xbaee, v62
	v_add_f16_e32 v27, v27, v28
	v_add_f16_e32 v28, v84, v83
	v_fmac_f16_e32 v62, 0x3aee, v30
	v_fma_f16 v30, 0x3aee, v56, v133
	v_fmac_f16_e64 v133, 0xbaee, v56
	v_add_f16_e32 v56, v25, v26
	v_add_f16_e32 v61, v61, v60
	;; [unrolled: 1-line block ×3, first 2 shown]
	v_fmac_f16_e32 v55, -0.5, v28
	v_sub_f16_e32 v28, v25, v26
	v_add_f16_e64 v25, v136, v25
	v_fmac_f16_e64 v136, -0.5, v56
	v_sub_f16_e32 v56, v84, v83
	v_add_f16_e32 v60, v60, v83
	v_fmamk_f16 v83, v28, 0xbaee, v55
	v_fmac_f16_e32 v55, 0x3aee, v28
	v_pack_b32_f16 v28, v45, v33
	v_pack_b32_f16 v33, v85, v82
	v_pack_b32_f16 v45, v53, v65
	v_pack_b32_f16 v31, v86, v31
	v_pack_b32_f16 v34, v81, v34
	v_add_f16_e32 v25, v25, v26
	v_fma_f16 v26, 0x3aee, v56, v136
	v_pack_b32_f16 v53, v54, v75
	v_fmac_f16_e64 v136, 0xbaee, v56
	v_pack_b32_f16 v29, v87, v29
	v_pack_b32_f16 v54, v57, v59
	ds_store_2addr_b32 v70, v28, v33 offset1:17
	ds_store_b32 v70, v45 offset:136
	ds_store_2addr_b32 v74, v31, v34 offset1:17
	ds_store_b32 v74, v53 offset:136
	ds_store_2addr_b32 v73, v29, v54 offset1:17
	v_pack_b32_f16 v28, v32, v130
	v_pack_b32_f16 v27, v61, v27
	v_pack_b32_f16 v29, v58, v30
	v_pack_b32_f16 v30, v62, v133
	v_pack_b32_f16 v25, v60, v25
	v_pack_b32_f16 v26, v83, v26
	v_pack_b32_f16 v31, v55, v136
	ds_store_b32 v73, v28 offset:136
	ds_store_2addr_b32 v72, v27, v29 offset1:17
	ds_store_b32 v72, v30 offset:136
	ds_store_2addr_b32 v71, v25, v26 offset1:17
	ds_store_b32 v71, v31 offset:136
	global_wb scope:SCOPE_SE
	s_wait_dscnt 0x0
	s_barrier_signal -1
	s_barrier_wait -1
	global_inv scope:SCOPE_SE
	ds_load_2addr_b32 v[25:26], v66 offset1:119
	ds_load_2addr_b32 v[28:29], v52 offset0:110 offset1:229
	ds_load_2addr_b32 v[30:31], v49 offset0:74 offset1:193
	ds_load_2addr_b32 v[32:33], v51 offset0:56 offset1:175
	ds_load_2addr_b32 v[53:54], v50 offset0:20 offset1:139
	ds_load_2addr_b32 v[55:56], v47 offset0:92 offset1:211
	ds_load_2addr_b32 v[57:58], v48 offset0:38 offset1:157
	ds_load_b32 v27, v66 offset:6664
	global_wb scope:SCOPE_SE
	s_wait_dscnt 0x0
	s_barrier_signal -1
	s_barrier_wait -1
	global_inv scope:SCOPE_SE
	v_lshrrev_b32_e32 v34, 16, v25
	v_lshrrev_b32_e32 v45, 16, v29
	;; [unrolled: 1-line block ×6, first 2 shown]
	v_mul_f16_e32 v83, v114, v45
	v_lshrrev_b32_e32 v70, 16, v31
	v_mul_f16_e32 v84, v114, v29
	v_mul_f16_e32 v85, v113, v59
	;; [unrolled: 1-line block ×4, first 2 shown]
	v_fmac_f16_e32 v83, v12, v29
	v_mul_f16_e32 v29, v112, v33
	v_lshrrev_b32_e32 v71, 16, v57
	v_lshrrev_b32_e32 v72, 16, v54
	v_fma_f16 v12, v12, v45, -v84
	v_fmac_f16_e32 v85, v13, v30
	v_fma_f16 v13, v13, v59, -v86
	v_fmac_f16_e32 v87, v14, v33
	v_mul_f16_e32 v30, v111, v61
	v_mul_f16_e32 v33, v111, v53
	;; [unrolled: 1-line block ×4, first 2 shown]
	v_fma_f16 v14, v14, v60, -v29
	v_mul_f16_e32 v29, v109, v70
	v_lshrrev_b32_e32 v74, 16, v56
	v_lshrrev_b32_e32 v75, 16, v32
	v_fmac_f16_e32 v30, v15, v53
	v_fma_f16 v15, v15, v61, -v33
	v_fmac_f16_e32 v45, v8, v55
	v_fma_f16 v8, v8, v65, -v59
	v_mul_f16_e32 v33, v109, v31
	v_mul_f16_e32 v53, v108, v71
	;; [unrolled: 1-line block ×4, first 2 shown]
	v_fmac_f16_e32 v29, v9, v31
	v_mul_f16_e32 v31, v107, v54
	v_lshrrev_b32_e32 v81, 16, v58
	v_lshrrev_b32_e32 v82, 16, v27
	v_fma_f16 v9, v9, v70, -v33
	v_fmac_f16_e32 v53, v10, v57
	v_fma_f16 v10, v10, v71, -v55
	v_fmac_f16_e32 v59, v11, v54
	v_mul_f16_e32 v33, v106, v74
	v_mul_f16_e32 v54, v106, v56
	;; [unrolled: 1-line block ×4, first 2 shown]
	v_fma_f16 v11, v11, v72, -v31
	v_add_f16_e32 v31, v85, v87
	v_fmac_f16_e32 v33, v4, v56
	v_fma_f16 v4, v4, v74, -v54
	v_fmac_f16_e32 v55, v5, v32
	v_fma_f16 v5, v5, v75, -v57
	v_mul_f16_e32 v32, v104, v81
	v_mul_f16_e32 v54, v104, v58
	;; [unrolled: 1-line block ×3, first 2 shown]
	v_add_f16_e32 v57, v25, v83
	v_fma_f16 v31, -0.5, v31, v25
	v_sub_f16_e32 v60, v12, v15
	v_fmac_f16_e32 v32, v6, v58
	v_fma_f16 v6, v6, v81, -v54
	v_fmac_f16_e32 v56, v7, v27
	v_add_f16_e32 v54, v57, v85
	v_fmamk_f16 v57, v60, 0xbb9c, v31
	v_sub_f16_e32 v58, v13, v14
	v_sub_f16_e32 v61, v83, v85
	;; [unrolled: 1-line block ×3, first 2 shown]
	v_add_f16_e32 v70, v83, v30
	v_mul_f16_e32 v27, v99, v27
	v_fmac_f16_e32 v31, 0x3b9c, v60
	v_add_f16_e32 v54, v54, v87
	v_fmac_f16_e32 v57, 0xb8b4, v58
	v_add_f16_e32 v61, v61, v65
	v_fma_f16 v25, -0.5, v70, v25
	v_fma_f16 v7, v7, v82, -v27
	v_sub_f16_e32 v27, v85, v83
	v_sub_f16_e32 v70, v87, v30
	v_fmac_f16_e32 v31, 0x38b4, v58
	v_add_f16_e32 v71, v34, v12
	v_add_f16_e32 v72, v13, v14
	;; [unrolled: 1-line block ×3, first 2 shown]
	v_fmac_f16_e32 v57, 0x34f2, v61
	v_fmamk_f16 v65, v58, 0x3b9c, v25
	v_add_f16_e32 v27, v27, v70
	v_fmac_f16_e32 v25, 0xbb9c, v58
	v_add_f16_e32 v58, v71, v13
	v_fma_f16 v70, -0.5, v72, v34
	v_sub_f16_e32 v30, v83, v30
	v_fmac_f16_e32 v31, 0x34f2, v61
	v_add_f16_e32 v61, v12, v15
	v_sub_f16_e32 v72, v12, v13
	v_sub_f16_e32 v12, v13, v12
	;; [unrolled: 1-line block ×3, first 2 shown]
	v_fmac_f16_e32 v65, 0xb8b4, v60
	v_fmac_f16_e32 v25, 0x38b4, v60
	v_add_f16_e32 v58, v58, v14
	v_fmamk_f16 v60, v30, 0x3b9c, v70
	v_sub_f16_e32 v71, v85, v87
	v_sub_f16_e32 v74, v15, v14
	v_fmac_f16_e32 v34, -0.5, v61
	v_fmac_f16_e32 v70, 0xbb9c, v30
	v_add_f16_e32 v14, v29, v53
	v_add_f16_e32 v12, v12, v13
	;; [unrolled: 1-line block ×3, first 2 shown]
	v_lshrrev_b32_e32 v62, 16, v26
	v_fmac_f16_e32 v65, 0x34f2, v27
	v_fmac_f16_e32 v25, 0x34f2, v27
	v_add_f16_e32 v58, v58, v15
	v_fmac_f16_e32 v60, 0x38b4, v71
	v_add_f16_e32 v27, v72, v74
	v_fmamk_f16 v61, v71, 0xbb9c, v34
	v_fmac_f16_e32 v70, 0xb8b4, v71
	v_fma_f16 v14, -0.5, v14, v26
	v_sub_f16_e32 v15, v8, v11
	v_fmac_f16_e32 v34, 0x3b9c, v71
	v_add_f16_e32 v13, v13, v29
	v_add_f16_e32 v75, v45, v59
	v_fmac_f16_e32 v60, 0x34f2, v27
	v_fmac_f16_e32 v61, 0x38b4, v30
	;; [unrolled: 1-line block ×3, first 2 shown]
	v_fmamk_f16 v71, v15, 0xbb9c, v14
	v_sub_f16_e32 v27, v9, v10
	v_sub_f16_e32 v72, v45, v29
	;; [unrolled: 1-line block ×3, first 2 shown]
	v_fmac_f16_e32 v34, 0xb8b4, v30
	v_add_f16_e32 v13, v13, v53
	v_fmac_f16_e32 v26, -0.5, v75
	v_fmac_f16_e32 v14, 0x3b9c, v15
	v_add_f16_e32 v75, v62, v8
	v_fmac_f16_e32 v61, 0x34f2, v12
	v_fmac_f16_e32 v71, 0xb8b4, v27
	v_add_f16_e32 v30, v72, v74
	v_fmac_f16_e32 v34, 0x34f2, v12
	v_add_f16_e32 v12, v13, v59
	v_fmamk_f16 v13, v27, 0x3b9c, v26
	v_sub_f16_e32 v72, v29, v45
	v_sub_f16_e32 v74, v53, v59
	v_fmac_f16_e32 v14, 0x38b4, v27
	v_add_f16_e32 v81, v9, v10
	v_fmac_f16_e32 v26, 0xbb9c, v27
	v_add_f16_e32 v27, v75, v9
	;; [unrolled: 2-line block ×3, first 2 shown]
	v_fma_f16 v74, -0.5, v81, v62
	v_sub_f16_e32 v59, v45, v59
	v_fmac_f16_e32 v26, 0x38b4, v15
	v_add_f16_e32 v15, v27, v10
	v_add_f16_e32 v27, v8, v11
	v_fmac_f16_e32 v71, 0x34f2, v30
	v_fmac_f16_e32 v14, 0x34f2, v30
	v_fmamk_f16 v30, v59, 0x3b9c, v74
	v_sub_f16_e32 v29, v29, v53
	v_sub_f16_e32 v45, v8, v9
	;; [unrolled: 1-line block ×3, first 2 shown]
	v_fmac_f16_e32 v62, -0.5, v27
	v_fmac_f16_e32 v74, 0xbb9c, v59
	v_sub_f16_e32 v8, v9, v8
	v_sub_f16_e32 v9, v10, v11
	v_add_f16_e32 v10, v55, v32
	v_fmac_f16_e32 v30, 0x38b4, v29
	v_add_f16_e32 v27, v45, v53
	v_fmamk_f16 v53, v29, 0xbb9c, v62
	v_fmac_f16_e32 v74, 0xb8b4, v29
	v_fmac_f16_e32 v62, 0x3b9c, v29
	v_fma_f16 v45, -0.5, v10, v28
	v_sub_f16_e32 v10, v4, v7
	v_add_f16_e32 v15, v15, v11
	v_fmac_f16_e32 v30, 0x34f2, v27
	v_fmac_f16_e32 v53, 0x38b4, v59
	v_add_f16_e32 v8, v8, v9
	v_add_f16_e32 v9, v28, v33
	v_fmac_f16_e32 v74, 0x34f2, v27
	v_fmac_f16_e32 v62, 0xb8b4, v59
	v_fmamk_f16 v11, v10, 0xbb9c, v45
	v_sub_f16_e32 v27, v5, v6
	v_sub_f16_e32 v29, v33, v55
	;; [unrolled: 1-line block ×3, first 2 shown]
	v_fmac_f16_e32 v45, 0x3b9c, v10
	v_fmac_f16_e32 v13, 0x34f2, v72
	;; [unrolled: 1-line block ×3, first 2 shown]
	v_add_f16_e32 v9, v9, v55
	v_add_f16_e32 v72, v33, v56
	v_fmac_f16_e32 v11, 0xb8b4, v27
	v_add_f16_e32 v29, v29, v59
	v_fmac_f16_e32 v45, 0x38b4, v27
	v_lshrrev_b32_e32 v73, 16, v28
	v_add_f16_e32 v9, v9, v32
	v_fmac_f16_e32 v28, -0.5, v72
	v_fmac_f16_e32 v11, 0x34f2, v29
	v_fmac_f16_e32 v45, 0x34f2, v29
	v_add_f16_e32 v29, v5, v6
	v_sub_f16_e32 v59, v55, v33
	v_sub_f16_e32 v72, v32, v56
	v_fmac_f16_e32 v53, 0x34f2, v8
	v_fmac_f16_e32 v62, 0x34f2, v8
	v_add_f16_e32 v8, v9, v56
	v_fmamk_f16 v9, v27, 0x3b9c, v28
	v_fmac_f16_e32 v28, 0xbb9c, v27
	v_fma_f16 v27, -0.5, v29, v73
	v_sub_f16_e32 v29, v33, v56
	v_add_f16_e32 v33, v59, v72
	v_add_f16_e32 v59, v4, v7
	;; [unrolled: 1-line block ×3, first 2 shown]
	v_fmac_f16_e32 v9, 0xb8b4, v10
	v_fmac_f16_e32 v28, 0x38b4, v10
	v_sub_f16_e32 v32, v55, v32
	v_fmac_f16_e32 v73, -0.5, v59
	v_add_f16_e32 v10, v75, v5
	v_fmamk_f16 v56, v29, 0x3b9c, v27
	v_fmac_f16_e32 v9, 0x34f2, v33
	v_fmac_f16_e32 v28, 0x34f2, v33
	v_sub_f16_e32 v33, v4, v5
	v_sub_f16_e32 v55, v7, v6
	v_fmac_f16_e32 v27, 0xbb9c, v29
	v_fmamk_f16 v59, v32, 0xbb9c, v73
	v_sub_f16_e32 v4, v5, v4
	v_sub_f16_e32 v5, v6, v7
	v_fmac_f16_e32 v73, 0x3b9c, v32
	v_add_f16_e32 v10, v10, v6
	v_fmac_f16_e32 v56, 0x38b4, v32
	v_add_f16_e32 v6, v33, v55
	v_fmac_f16_e32 v27, 0xb8b4, v32
	v_fmac_f16_e32 v59, 0x38b4, v29
	v_add_f16_e32 v4, v4, v5
	v_fmac_f16_e32 v73, 0xb8b4, v29
	v_fmac_f16_e32 v56, 0x34f2, v6
	v_fmac_f16_e32 v27, 0x34f2, v6
	v_pack_b32_f16 v6, v57, v60
	v_fmac_f16_e32 v59, 0x34f2, v4
	v_fmac_f16_e32 v73, 0x34f2, v4
	v_pack_b32_f16 v4, v54, v58
	v_add_f16_e32 v5, v10, v7
	v_pack_b32_f16 v7, v65, v61
	v_pack_b32_f16 v10, v25, v34
	;; [unrolled: 1-line block ×5, first 2 shown]
	ds_store_2addr_b32 v69, v4, v6 offset1:51
	ds_store_2addr_b32 v69, v7, v10 offset0:102 offset1:153
	ds_store_b32 v69, v25 offset:816
	ds_store_2addr_b32 v68, v12, v15 offset1:51
	v_pack_b32_f16 v4, v13, v53
	v_pack_b32_f16 v6, v26, v62
	;; [unrolled: 1-line block ×8, first 2 shown]
	ds_store_2addr_b32 v68, v4, v6 offset0:102 offset1:153
	ds_store_b32 v68, v7 offset:816
	ds_store_2addr_b32 v67, v5, v8 offset1:51
	ds_store_2addr_b32 v67, v9, v10 offset0:102 offset1:153
	ds_store_b32 v67, v11 offset:816
	global_wb scope:SCOPE_SE
	s_wait_dscnt 0x0
	s_barrier_signal -1
	s_barrier_wait -1
	global_inv scope:SCOPE_SE
	ds_load_2addr_b32 v[4:5], v66 offset1:119
	ds_load_2addr_b32 v[25:26], v52 offset0:127 offset1:246
	ds_load_2addr_b32 v[14:15], v47 offset0:126 offset1:245
	;; [unrolled: 1-line block ×6, first 2 shown]
	s_and_saveexec_b32 s1, s0
	s_cbranch_execz .LBB0_19
; %bb.18:
	v_add_nc_u32_e32 v27, 0x3b8, v66
	v_add_nc_u32_e32 v28, 0xbb0, v66
	;; [unrolled: 1-line block ×3, first 2 shown]
	ds_load_2addr_b32 v[45:46], v27 offset1:255
	ds_load_2addr_b32 v[41:42], v28 offset1:255
	;; [unrolled: 1-line block ×3, first 2 shown]
	ds_load_b32 v118, v66 offset:7072
	s_wait_dscnt 0x3
	v_lshrrev_b32_e32 v27, 16, v45
	v_lshrrev_b32_e32 v121, 16, v46
	s_wait_dscnt 0x2
	v_lshrrev_b32_e32 v120, 16, v41
	v_lshrrev_b32_e32 v115, 16, v42
	s_wait_dscnt 0x1
	v_lshrrev_b32_e32 v116, 16, v43
	v_lshrrev_b32_e32 v117, 16, v44
	s_wait_dscnt 0x0
	v_lshrrev_b32_e32 v119, 16, v118
.LBB0_19:
	s_wait_alu 0xfffe
	s_or_b32 exec_lo, exec_lo, s1
	s_wait_dscnt 0x5
	v_lshrrev_b32_e32 v29, 16, v25
	s_wait_dscnt 0x4
	v_lshrrev_b32_e32 v30, 16, v14
	;; [unrolled: 2-line block ×4, first 2 shown]
	v_mul_f16_e32 v60, v103, v25
	v_mul_f16_e32 v59, v103, v29
	;; [unrolled: 1-line block ×4, first 2 shown]
	s_wait_dscnt 0x1
	v_lshrrev_b32_e32 v33, 16, v8
	s_wait_dscnt 0x0
	v_lshrrev_b32_e32 v34, 16, v6
	v_lshrrev_b32_e32 v54, 16, v26
	v_fmac_f16_e32 v59, v20, v25
	v_fma_f16 v20, v20, v29, -v60
	v_fmac_f16_e32 v61, v21, v14
	v_fma_f16 v14, v21, v30, -v62
	v_mul_f16_e32 v21, v101, v31
	v_mul_f16_e32 v25, v101, v12
	v_mul_f16_e32 v29, v100, v32
	v_mul_f16_e32 v30, v100, v10
	v_lshrrev_b32_e32 v55, 16, v15
	v_lshrrev_b32_e32 v56, 16, v13
	;; [unrolled: 1-line block ×3, first 2 shown]
	v_mul_f16_e32 v60, v98, v33
	v_fmac_f16_e32 v21, v22, v12
	v_fma_f16 v12, v22, v31, -v25
	v_fmac_f16_e32 v29, v23, v10
	v_fma_f16 v10, v23, v32, -v30
	v_mul_f16_e32 v22, v97, v34
	v_mul_f16_e32 v23, v97, v6
	;; [unrolled: 1-line block ×4, first 2 shown]
	v_lshrrev_b32_e32 v58, 16, v9
	v_lshrrev_b32_e32 v65, 16, v7
	v_fmac_f16_e32 v60, v37, v8
	v_mul_f16_e32 v8, v98, v8
	v_fmac_f16_e32 v22, v38, v6
	v_fma_f16 v6, v38, v34, -v23
	v_fmac_f16_e32 v25, v16, v26
	v_fma_f16 v16, v16, v54, -v30
	v_mul_f16_e32 v23, v95, v55
	v_mul_f16_e32 v26, v95, v15
	;; [unrolled: 1-line block ×5, first 2 shown]
	v_fma_f16 v8, v37, v33, -v8
	v_fmac_f16_e32 v23, v17, v15
	v_fma_f16 v15, v17, v55, -v26
	v_fmac_f16_e32 v30, v18, v13
	;; [unrolled: 2-line block ×3, first 2 shown]
	v_mul_f16_e32 v11, v93, v11
	v_mul_f16_e32 v17, v92, v58
	;; [unrolled: 1-line block ×5, first 2 shown]
	v_fma_f16 v11, v19, v57, -v11
	v_fmac_f16_e32 v17, v39, v9
	v_fma_f16 v9, v39, v58, -v18
	v_fmac_f16_e32 v26, v40, v7
	v_fma_f16 v7, v40, v65, -v31
	v_add_f16_e32 v18, v59, v22
	v_add_f16_e32 v19, v20, v6
	v_sub_f16_e32 v6, v20, v6
	v_add_f16_e32 v20, v61, v60
	v_add_f16_e32 v31, v14, v8
	v_sub_f16_e32 v22, v59, v22
	v_sub_f16_e32 v33, v61, v60
	;; [unrolled: 1-line block ×3, first 2 shown]
	v_add_f16_e32 v14, v21, v29
	v_add_f16_e32 v34, v12, v10
	v_sub_f16_e32 v21, v29, v21
	v_sub_f16_e32 v10, v10, v12
	v_add_f16_e32 v12, v20, v18
	v_add_f16_e32 v29, v31, v19
	v_lshrrev_b32_e32 v28, 16, v4
	v_sub_f16_e32 v37, v20, v18
	v_sub_f16_e32 v38, v31, v19
	;; [unrolled: 1-line block ×6, first 2 shown]
	v_add_f16_e32 v39, v21, v33
	v_add_f16_e32 v40, v10, v8
	v_sub_f16_e32 v54, v21, v33
	v_sub_f16_e32 v55, v10, v8
	;; [unrolled: 1-line block ×3, first 2 shown]
	v_add_f16_e32 v12, v14, v12
	v_add_f16_e32 v14, v34, v29
	v_sub_f16_e32 v8, v8, v6
	v_sub_f16_e32 v21, v22, v21
	;; [unrolled: 1-line block ×3, first 2 shown]
	v_add_f16_e32 v22, v39, v22
	v_add_f16_e32 v6, v40, v6
	;; [unrolled: 1-line block ×4, first 2 shown]
	v_mul_f16_e32 v18, 0x3a52, v18
	v_mul_f16_e32 v19, 0x3a52, v19
	;; [unrolled: 1-line block ×8, first 2 shown]
	v_fmamk_f16 v12, v12, 0xbcab, v4
	v_fmamk_f16 v14, v14, 0xbcab, v28
	;; [unrolled: 1-line block ×4, first 2 shown]
	v_fma_f16 v29, v37, 0x39e0, -v29
	v_fma_f16 v34, v38, 0x39e0, -v34
	;; [unrolled: 1-line block ×4, first 2 shown]
	v_fmamk_f16 v37, v21, 0xb574, v39
	v_fmamk_f16 v38, v10, 0xb574, v40
	v_fma_f16 v21, v21, 0x3574, -v54
	v_fma_f16 v10, v10, 0x3574, -v55
	;; [unrolled: 1-line block ×4, first 2 shown]
	v_add_f16_e32 v20, v20, v12
	v_add_f16_e32 v31, v31, v14
	;; [unrolled: 1-line block ×6, first 2 shown]
	v_fmac_f16_e32 v37, 0xb70e, v22
	v_fmac_f16_e32 v38, 0xb70e, v6
	;; [unrolled: 1-line block ×6, first 2 shown]
	v_add_f16_e32 v6, v38, v20
	v_sub_f16_e32 v18, v31, v37
	v_add_f16_e32 v19, v10, v12
	v_sub_f16_e32 v22, v14, v21
	v_sub_f16_e32 v10, v12, v10
	v_add_f16_e32 v12, v21, v14
	v_sub_f16_e32 v14, v20, v38
	v_add_f16_e32 v20, v37, v31
	v_add_f16_e32 v21, v25, v26
	;; [unrolled: 1-line block ×3, first 2 shown]
	v_sub_f16_e32 v25, v25, v26
	v_sub_f16_e32 v7, v16, v7
	v_add_f16_e32 v16, v23, v17
	v_add_f16_e32 v26, v15, v9
	v_sub_f16_e32 v17, v23, v17
	v_sub_f16_e32 v9, v15, v9
	v_add_f16_e32 v15, v30, v32
	v_add_f16_e32 v23, v13, v11
	;; [unrolled: 4-line block ×3, first 2 shown]
	v_lshrrev_b32_e32 v53, 16, v5
	v_sub_f16_e32 v39, v29, v8
	v_add_f16_e32 v40, v33, v34
	v_add_f16_e32 v8, v8, v29
	v_sub_f16_e32 v29, v34, v33
	v_sub_f16_e32 v33, v16, v21
	v_sub_f16_e32 v34, v26, v31
	v_sub_f16_e32 v21, v21, v15
	v_sub_f16_e32 v31, v31, v23
	v_sub_f16_e32 v16, v15, v16
	v_sub_f16_e32 v26, v23, v26
	v_add_f16_e32 v37, v30, v17
	v_add_f16_e32 v38, v11, v9
	v_sub_f16_e32 v54, v30, v17
	v_sub_f16_e32 v55, v11, v9
	v_add_f16_e32 v13, v15, v13
	v_add_f16_e32 v15, v23, v32
	v_sub_f16_e32 v17, v17, v25
	v_sub_f16_e32 v9, v9, v7
	;; [unrolled: 1-line block ×4, first 2 shown]
	v_add_f16_e32 v23, v37, v25
	v_add_f16_e32 v7, v38, v7
	v_add_f16_e32 v5, v5, v13
	v_add_f16_e32 v25, v53, v15
	v_mul_f16_e32 v21, 0x3a52, v21
	v_mul_f16_e32 v31, 0x3a52, v31
	;; [unrolled: 1-line block ×8, first 2 shown]
	v_fmamk_f16 v13, v13, 0xbcab, v5
	v_fmamk_f16 v15, v15, 0xbcab, v25
	;; [unrolled: 1-line block ×4, first 2 shown]
	v_fma_f16 v32, v33, 0x39e0, -v32
	v_fma_f16 v37, v34, 0x39e0, -v37
	;; [unrolled: 1-line block ×4, first 2 shown]
	v_fmamk_f16 v33, v30, 0xb574, v38
	v_fmamk_f16 v34, v11, 0xb574, v53
	v_fma_f16 v30, v30, 0x3574, -v54
	v_fma_f16 v11, v11, 0x3574, -v55
	;; [unrolled: 1-line block ×4, first 2 shown]
	v_add_f16_e32 v16, v16, v13
	v_add_f16_e32 v26, v26, v15
	v_fmac_f16_e32 v33, 0xb70e, v23
	v_fmac_f16_e32 v34, 0xb70e, v7
	v_add_f16_e32 v32, v32, v13
	v_add_f16_e32 v37, v37, v15
	;; [unrolled: 1-line block ×4, first 2 shown]
	v_fmac_f16_e32 v11, 0xb70e, v7
	v_fmac_f16_e32 v30, 0xb70e, v23
	;; [unrolled: 1-line block ×4, first 2 shown]
	v_add_f16_e32 v7, v34, v16
	v_sub_f16_e32 v21, v26, v33
	v_add_f16_e32 v23, v11, v13
	v_sub_f16_e32 v31, v15, v30
	v_pack_b32_f16 v4, v4, v28
	v_pack_b32_f16 v5, v5, v25
	v_sub_f16_e32 v38, v32, v9
	v_add_f16_e32 v53, v17, v37
	v_pack_b32_f16 v6, v6, v18
	v_pack_b32_f16 v7, v7, v21
	v_add_f16_e32 v9, v9, v32
	v_sub_f16_e32 v17, v37, v17
	v_sub_f16_e32 v11, v13, v11
	v_add_f16_e32 v13, v30, v15
	v_sub_f16_e32 v15, v16, v34
	v_add_f16_e32 v16, v33, v26
	v_pack_b32_f16 v18, v19, v22
	ds_store_2addr_b32 v66, v4, v5 offset1:119
	ds_store_2addr_b32 v52, v6, v7 offset0:127 offset1:246
	v_pack_b32_f16 v4, v23, v31
	v_pack_b32_f16 v19, v39, v40
	;; [unrolled: 1-line block ×9, first 2 shown]
	ds_store_2addr_b32 v47, v18, v4 offset0:126 offset1:245
	ds_store_2addr_b32 v49, v19, v5 offset0:125 offset1:244
	;; [unrolled: 1-line block ×5, first 2 shown]
	s_and_saveexec_b32 s1, s0
	s_cbranch_execz .LBB0_21
; %bb.20:
	v_mul_f16_e32 v4, v80, v121
	v_mul_f16_e32 v7, v78, v120
	v_mul_f16_e64 v12, v222, v118
	v_mul_f16_e32 v15, v80, v46
	v_mul_f16_e32 v17, v79, v44
	v_mul_f16_e32 v18, v78, v41
	v_mul_f16_e32 v5, v77, v116
	v_mul_f16_e32 v6, v76, v115
	v_mul_f16_e32 v8, v79, v117
	v_mul_f16_e64 v9, v222, v119
	v_fmac_f16_e32 v7, v1, v41
	v_fmac_f16_e32 v4, v0, v46
	v_fma_f16 v12, v36, v119, -v12
	v_fma_f16 v0, v0, v121, -v15
	v_mul_f16_e32 v15, v76, v42
	v_mul_f16_e32 v19, v77, v43
	v_fma_f16 v17, v35, v117, -v17
	v_fma_f16 v1, v1, v120, -v18
	v_fmac_f16_e32 v5, v3, v43
	v_fmac_f16_e32 v6, v2, v42
	;; [unrolled: 1-line block ×4, first 2 shown]
	v_add_f16_e32 v18, v12, v0
	v_fma_f16 v2, v2, v115, -v15
	v_fma_f16 v3, v3, v116, -v19
	v_add_f16_e32 v15, v17, v1
	v_sub_f16_e32 v11, v7, v8
	v_sub_f16_e32 v13, v4, v9
	v_add_f16_e32 v4, v9, v4
	v_add_f16_e32 v20, v2, v3
	;; [unrolled: 1-line block ×4, first 2 shown]
	v_sub_f16_e32 v10, v5, v6
	v_add_f16_e32 v5, v6, v5
	v_sub_f16_e32 v22, v18, v20
	v_add_f16_e32 v21, v20, v21
	;; [unrolled: 2-line block ×3, first 2 shown]
	v_sub_f16_e32 v23, v4, v5
	v_sub_f16_e32 v2, v3, v2
	;; [unrolled: 1-line block ×4, first 2 shown]
	v_add_f16_e32 v20, v5, v20
	v_sub_f16_e32 v14, v10, v11
	v_mul_f16_e32 v3, 0x3a52, v23
	v_sub_f16_e32 v5, v5, v7
	v_sub_f16_e32 v12, v2, v1
	v_add_f16_e32 v17, v45, v20
	v_sub_f16_e32 v16, v13, v10
	v_add_f16_e32 v10, v10, v11
	v_mul_f16_e32 v9, 0x3a52, v22
	v_sub_f16_e32 v25, v0, v2
	v_sub_f16_e32 v11, v11, v13
	v_add_f16_e32 v2, v2, v1
	v_sub_f16_e32 v15, v15, v18
	v_sub_f16_e32 v1, v1, v0
	v_mul_f16_e32 v14, 0x3846, v14
	v_add_f16_e32 v6, v27, v21
	v_mul_f16_e32 v22, 0x2b26, v8
	v_fmamk_f16 v23, v5, 0x2b26, v3
	v_fmamk_f16 v20, v20, 0xbcab, v17
	v_mul_f16_e32 v12, 0x3846, v12
	v_fmamk_f16 v8, v8, 0x2b26, v9
	v_mul_f16_e32 v5, 0x2b26, v5
	v_mul_f16_e32 v27, 0xbb00, v11
	v_sub_f16_e32 v4, v7, v4
	v_fma_f16 v7, v15, 0xb9e0, -v9
	v_mul_f16_e32 v9, 0xbb00, v1
	v_fmamk_f16 v19, v16, 0xb574, v14
	v_add_f16_e32 v10, v10, v13
	v_fmamk_f16 v21, v21, 0xbcab, v6
	v_add_f16_e32 v13, v23, v20
	;; [unrolled: 2-line block ×3, first 2 shown]
	v_fma_f16 v15, v15, 0x39e0, -v22
	v_fma_f16 v11, v11, 0xbb00, -v14
	;; [unrolled: 1-line block ×7, first 2 shown]
	v_fmac_f16_e32 v19, 0xb70e, v10
	v_add_f16_e32 v8, v8, v21
	v_fmac_f16_e32 v23, 0xb70e, v0
	v_add_f16_e32 v5, v15, v21
	v_fmac_f16_e32 v11, 0xb70e, v10
	v_fmac_f16_e32 v2, 0xb70e, v10
	v_add_f16_e32 v7, v7, v21
	v_add_f16_e32 v3, v3, v20
	v_fmac_f16_e32 v9, 0xb70e, v0
	v_fmac_f16_e32 v1, 0xb70e, v0
	v_add_f16_e32 v0, v4, v20
	v_add_f16_e32 v26, v19, v8
	v_sub_f16_e32 v14, v5, v11
	v_add_f16_e32 v5, v11, v5
	v_sub_f16_e32 v8, v8, v19
	v_add_f16_e32 v11, v23, v13
	v_add_f16_e32 v10, v2, v7
	v_sub_f16_e32 v12, v3, v9
	v_add_f16_e32 v15, v1, v0
	v_sub_f16_e32 v2, v7, v2
	;; [unrolled: 2-line block ×3, first 2 shown]
	v_sub_f16_e32 v4, v13, v23
	v_pack_b32_f16 v1, v17, v6
	v_pack_b32_f16 v6, v11, v8
	v_add_nc_u32_e32 v7, 0x3b8, v66
	v_pack_b32_f16 v2, v3, v2
	v_pack_b32_f16 v0, v0, v5
	v_add_nc_u32_e32 v3, 0xbb0, v66
	;; [unrolled: 3-line block ×3, first 2 shown]
	v_pack_b32_f16 v4, v4, v26
	ds_store_2addr_b32 v7, v1, v6 offset1:255
	ds_store_2addr_b32 v3, v2, v0 offset1:255
	;; [unrolled: 1-line block ×3, first 2 shown]
	ds_store_b32 v66, v4 offset:7072
.LBB0_21:
	s_wait_alu 0xfffe
	s_or_b32 exec_lo, exec_lo, s1
	global_wb scope:SCOPE_SE
	s_wait_dscnt 0x0
	s_barrier_signal -1
	s_barrier_wait -1
	global_inv scope:SCOPE_SE
	s_and_b32 exec_lo, exec_lo, vcc_lo
	s_cbranch_execz .LBB0_23
; %bb.22:
	global_load_b32 v0, v63, s[12:13]
	ds_load_b32 v1, v66
	s_mov_b32 s8, 0x125b8012
	s_mov_b32 s9, 0x3f425b80
	v_mad_co_u64_u32 v[6:7], null, s4, v64, 0
	s_wait_dscnt 0x0
	v_lshrrev_b32_e32 v2, 16, v1
	s_wait_loadcnt 0x0
	v_lshrrev_b32_e32 v3, 16, v0
	s_delay_alu instid0(VALU_DEP_1) | instskip(SKIP_1) | instid1(VALU_DEP_2)
	v_mul_f16_e32 v4, v2, v3
	v_mul_f16_e32 v3, v1, v3
	v_fmac_f16_e32 v4, v1, v0
	s_delay_alu instid0(VALU_DEP_2) | instskip(NEXT) | instid1(VALU_DEP_2)
	v_fma_f16 v0, v0, v2, -v3
	v_cvt_f32_f16_e32 v1, v4
	s_delay_alu instid0(VALU_DEP_2) | instskip(SKIP_1) | instid1(VALU_DEP_3)
	v_cvt_f32_f16_e32 v2, v0
	v_mad_co_u64_u32 v[4:5], null, s6, v223, 0
	v_cvt_f64_f32_e32 v[0:1], v1
	s_delay_alu instid0(VALU_DEP_3) | instskip(SKIP_1) | instid1(VALU_DEP_2)
	v_cvt_f64_f32_e32 v[2:3], v2
	s_wait_alu 0xfffe
	v_mul_f64_e32 v[0:1], s[8:9], v[0:1]
	s_delay_alu instid0(VALU_DEP_2) | instskip(NEXT) | instid1(VALU_DEP_2)
	v_mul_f64_e32 v[2:3], s[8:9], v[2:3]
	v_and_or_b32 v0, 0x1ff, v1, v0
	s_delay_alu instid0(VALU_DEP_2)
	v_and_or_b32 v2, 0x1ff, v3, v2
	v_lshrrev_b32_e32 v8, 8, v1
	v_bfe_u32 v10, v1, 20, 11
	v_lshrrev_b32_e32 v9, 8, v3
	v_cmp_ne_u32_e32 vcc_lo, 0, v0
	v_bfe_u32 v11, v3, 20, 11
	v_mov_b32_e32 v0, v7
	v_sub_nc_u32_e32 v13, 0x3f1, v10
	v_lshrrev_b32_e32 v3, 16, v3
	v_cndmask_b32_e64 v12, 0, 1, vcc_lo
	v_cmp_ne_u32_e32 vcc_lo, 0, v2
	v_sub_nc_u32_e32 v14, 0x3f1, v11
	v_med3_i32 v13, v13, 0, 13
	s_delay_alu instid0(VALU_DEP_4)
	v_and_or_b32 v12, 0xffe, v8, v12
	s_wait_alu 0xfffd
	v_cndmask_b32_e64 v2, 0, 1, vcc_lo
	v_mad_co_u64_u32 v[7:8], null, s7, v223, v[5:6]
	v_med3_i32 v14, v14, 0, 13
	v_or_b32_e32 v15, 0x1000, v12
	s_delay_alu instid0(VALU_DEP_4) | instskip(NEXT) | instid1(VALU_DEP_4)
	v_and_or_b32 v2, 0xffe, v9, v2
	v_mov_b32_e32 v5, v7
	s_delay_alu instid0(VALU_DEP_2) | instskip(SKIP_2) | instid1(VALU_DEP_4)
	v_or_b32_e32 v16, 0x1000, v2
	v_mad_co_u64_u32 v[8:9], null, s5, v64, v[0:1]
	v_lshrrev_b32_e32 v0, v13, v15
	v_lshlrev_b64_e32 v[4:5], 2, v[4:5]
	s_delay_alu instid0(VALU_DEP_4) | instskip(SKIP_1) | instid1(VALU_DEP_3)
	v_lshrrev_b32_e32 v9, v14, v16
	s_mul_u64 s[4:5], s[4:5], 0x1a4
	v_lshlrev_b32_e32 v13, v13, v0
	s_delay_alu instid0(VALU_DEP_2) | instskip(NEXT) | instid1(VALU_DEP_2)
	v_dual_mov_b32 v7, v8 :: v_dual_lshlrev_b32 v8, v14, v9
	v_cmp_ne_u32_e32 vcc_lo, v13, v15
	s_wait_alu 0xfffd
	v_cndmask_b32_e64 v13, 0, 1, vcc_lo
	s_delay_alu instid0(VALU_DEP_3) | instskip(NEXT) | instid1(VALU_DEP_2)
	v_cmp_ne_u32_e32 vcc_lo, v8, v16
	v_or_b32_e32 v0, v0, v13
	v_add_nc_u32_e32 v11, 0xfffffc10, v11
	s_wait_alu 0xfffd
	v_cndmask_b32_e64 v8, 0, 1, vcc_lo
	s_delay_alu instid0(VALU_DEP_2) | instskip(NEXT) | instid1(VALU_DEP_2)
	v_lshl_or_b32 v13, v11, 12, v2
	v_or_b32_e32 v8, v9, v8
	v_add_nc_u32_e32 v10, 0xfffffc10, v10
	v_lshrrev_b32_e32 v9, 16, v1
	s_delay_alu instid0(VALU_DEP_2) | instskip(SKIP_2) | instid1(VALU_DEP_2)
	v_lshl_or_b32 v14, v10, 12, v12
	v_cmp_gt_i32_e32 vcc_lo, 1, v10
	s_wait_alu 0xfffd
	v_cndmask_b32_e32 v0, v14, v0, vcc_lo
	v_cmp_gt_i32_e32 vcc_lo, 1, v11
	s_wait_alu 0xfffd
	v_cndmask_b32_e32 v1, v13, v8, vcc_lo
	v_cmp_ne_u32_e32 vcc_lo, 0, v12
	v_and_b32_e32 v12, 7, v0
	v_lshrrev_b32_e32 v0, 2, v0
	s_wait_alu 0xfffd
	v_cndmask_b32_e64 v8, 0, 1, vcc_lo
	v_cmp_ne_u32_e32 vcc_lo, 0, v2
	v_cmp_eq_u32_e64 s0, 3, v12
	s_delay_alu instid0(VALU_DEP_3) | instskip(SKIP_3) | instid1(VALU_DEP_2)
	v_lshl_or_b32 v8, v8, 9, 0x7c00
	s_wait_alu 0xfffd
	v_cndmask_b32_e64 v2, 0, 1, vcc_lo
	v_cmp_lt_i32_e32 vcc_lo, 5, v12
	v_lshl_or_b32 v2, v2, 9, 0x7c00
	s_or_b32 vcc_lo, s0, vcc_lo
	s_wait_alu 0xfffe
	v_add_co_ci_u32_e32 v0, vcc_lo, 0, v0, vcc_lo
	v_and_b32_e32 v13, 7, v1
	v_lshrrev_b32_e32 v1, 2, v1
	s_delay_alu instid0(VALU_DEP_2) | instskip(SKIP_1) | instid1(VALU_DEP_1)
	v_cmp_lt_i32_e64 s1, 5, v13
	v_cmp_eq_u32_e64 s2, 3, v13
	s_or_b32 vcc_lo, s2, s1
	s_wait_alu 0xfffe
	v_add_co_ci_u32_e32 v1, vcc_lo, 0, v1, vcc_lo
	v_cmp_gt_i32_e32 vcc_lo, 31, v10
	s_wait_alu 0xfffd
	v_cndmask_b32_e32 v0, 0x7c00, v0, vcc_lo
	v_cmp_gt_i32_e32 vcc_lo, 31, v11
	s_wait_alu 0xfffd
	v_cndmask_b32_e32 v12, 0x7c00, v1, vcc_lo
	v_cmp_eq_u32_e32 vcc_lo, 0x40f, v10
	s_wait_alu 0xfffd
	v_cndmask_b32_e32 v8, v0, v8, vcc_lo
	v_cmp_eq_u32_e32 vcc_lo, 0x40f, v11
	v_lshlrev_b64_e32 v[0:1], 2, v[6:7]
	s_delay_alu instid0(VALU_DEP_3)
	v_and_or_b32 v6, 0x8000, v9, v8
	s_wait_alu 0xfffd
	v_cndmask_b32_e32 v2, v12, v2, vcc_lo
	v_add_co_u32 v4, vcc_lo, s14, v4
	s_wait_alu 0xfffd
	v_add_co_ci_u32_e32 v5, vcc_lo, s15, v5, vcc_lo
	s_delay_alu instid0(VALU_DEP_3) | instskip(SKIP_4) | instid1(VALU_DEP_3)
	v_and_or_b32 v2, 0x8000, v3, v2
	v_and_b32_e32 v3, 0xffff, v6
	v_add_co_u32 v0, vcc_lo, v4, v0
	s_wait_alu 0xfffd
	v_add_co_ci_u32_e32 v1, vcc_lo, v5, v1, vcc_lo
	v_lshl_or_b32 v2, v2, 16, v3
	global_store_b32 v[0:1], v2, off
	global_load_b32 v4, v63, s[12:13] offset:420
	ds_load_2addr_b32 v[2:3], v63 offset0:105 offset1:210
	s_wait_dscnt 0x0
	v_lshrrev_b32_e32 v5, 16, v2
	s_wait_loadcnt 0x0
	v_lshrrev_b32_e32 v6, 16, v4
	s_delay_alu instid0(VALU_DEP_1) | instskip(SKIP_1) | instid1(VALU_DEP_2)
	v_mul_f16_e32 v7, v5, v6
	v_mul_f16_e32 v6, v2, v6
	v_fmac_f16_e32 v7, v2, v4
	s_delay_alu instid0(VALU_DEP_2) | instskip(NEXT) | instid1(VALU_DEP_2)
	v_fma_f16 v2, v4, v5, -v6
	v_cvt_f32_f16_e32 v4, v7
	s_delay_alu instid0(VALU_DEP_2) | instskip(NEXT) | instid1(VALU_DEP_2)
	v_cvt_f32_f16_e32 v2, v2
	v_cvt_f64_f32_e32 v[4:5], v4
	s_delay_alu instid0(VALU_DEP_2) | instskip(NEXT) | instid1(VALU_DEP_2)
	v_cvt_f64_f32_e32 v[6:7], v2
	v_mul_f64_e32 v[4:5], s[8:9], v[4:5]
	s_delay_alu instid0(VALU_DEP_2) | instskip(NEXT) | instid1(VALU_DEP_2)
	v_mul_f64_e32 v[6:7], s[8:9], v[6:7]
	v_and_or_b32 v2, 0x1ff, v5, v4
	s_delay_alu instid0(VALU_DEP_2)
	v_and_or_b32 v6, 0x1ff, v7, v6
	v_lshrrev_b32_e32 v4, 8, v5
	v_bfe_u32 v8, v5, 20, 11
	v_lshrrev_b32_e32 v9, 8, v7
	v_cmp_ne_u32_e32 vcc_lo, 0, v2
	v_bfe_u32 v10, v7, 20, 11
	v_lshrrev_b32_e32 v5, 16, v5
	v_sub_nc_u32_e32 v11, 0x3f1, v8
	v_add_nc_u32_e32 v8, 0xfffffc10, v8
	s_wait_alu 0xfffd
	v_cndmask_b32_e64 v2, 0, 1, vcc_lo
	v_cmp_ne_u32_e32 vcc_lo, 0, v6
	v_lshrrev_b32_e32 v7, 16, v7
	s_delay_alu instid0(VALU_DEP_3) | instskip(SKIP_4) | instid1(VALU_DEP_3)
	v_and_or_b32 v2, 0xffe, v4, v2
	s_wait_alu 0xfffd
	v_cndmask_b32_e64 v6, 0, 1, vcc_lo
	v_sub_nc_u32_e32 v4, 0x3f1, v10
	v_add_nc_u32_e32 v10, 0xfffffc10, v10
	v_and_or_b32 v6, 0xffe, v9, v6
	v_med3_i32 v9, v11, 0, 13
	v_or_b32_e32 v11, 0x1000, v2
	v_med3_i32 v4, v4, 0, 13
	s_delay_alu instid0(VALU_DEP_4) | instskip(NEXT) | instid1(VALU_DEP_3)
	v_or_b32_e32 v12, 0x1000, v6
	v_lshrrev_b32_e32 v13, v9, v11
	s_delay_alu instid0(VALU_DEP_2) | instskip(NEXT) | instid1(VALU_DEP_2)
	v_lshrrev_b32_e32 v14, v4, v12
	v_lshlrev_b32_e32 v9, v9, v13
	s_delay_alu instid0(VALU_DEP_2) | instskip(NEXT) | instid1(VALU_DEP_2)
	v_lshlrev_b32_e32 v4, v4, v14
	v_cmp_ne_u32_e32 vcc_lo, v9, v11
	v_lshl_or_b32 v11, v8, 12, v2
	s_wait_alu 0xfffd
	v_cndmask_b32_e64 v9, 0, 1, vcc_lo
	v_cmp_ne_u32_e32 vcc_lo, v4, v12
	v_lshl_or_b32 v12, v10, 12, v6
	s_delay_alu instid0(VALU_DEP_3) | instskip(SKIP_3) | instid1(VALU_DEP_2)
	v_or_b32_e32 v9, v13, v9
	s_wait_alu 0xfffd
	v_cndmask_b32_e64 v4, 0, 1, vcc_lo
	v_cmp_gt_i32_e32 vcc_lo, 1, v8
	v_or_b32_e32 v4, v14, v4
	s_wait_alu 0xfffd
	v_cndmask_b32_e32 v9, v11, v9, vcc_lo
	v_cmp_gt_i32_e32 vcc_lo, 1, v10
	s_wait_alu 0xfffd
	s_delay_alu instid0(VALU_DEP_2) | instskip(SKIP_2) | instid1(VALU_DEP_3)
	v_dual_cndmask_b32 v4, v12, v4 :: v_dual_and_b32 v11, 7, v9
	v_cmp_ne_u32_e32 vcc_lo, 0, v2
	v_lshrrev_b32_e32 v9, 2, v9
	v_cmp_eq_u32_e64 s0, 3, v11
	s_delay_alu instid0(VALU_DEP_4)
	v_and_b32_e32 v12, 7, v4
	s_wait_alu 0xfffd
	v_cndmask_b32_e64 v2, 0, 1, vcc_lo
	v_cmp_ne_u32_e32 vcc_lo, 0, v6
	v_lshrrev_b32_e32 v4, 2, v4
	v_cmp_lt_i32_e64 s1, 5, v12
	v_cmp_eq_u32_e64 s2, 3, v12
	s_wait_alu 0xfffd
	v_cndmask_b32_e64 v6, 0, 1, vcc_lo
	v_cmp_lt_i32_e32 vcc_lo, 5, v11
	v_lshl_or_b32 v2, v2, 9, 0x7c00
	s_delay_alu instid0(VALU_DEP_3)
	v_lshl_or_b32 v6, v6, 9, 0x7c00
	s_or_b32 vcc_lo, s0, vcc_lo
	s_wait_alu 0xfffe
	v_add_co_ci_u32_e32 v9, vcc_lo, 0, v9, vcc_lo
	s_or_b32 vcc_lo, s2, s1
	s_wait_alu 0xfffe
	v_add_co_ci_u32_e32 v4, vcc_lo, 0, v4, vcc_lo
	v_cmp_gt_i32_e32 vcc_lo, 31, v8
	s_wait_alu 0xfffd
	v_cndmask_b32_e32 v9, 0x7c00, v9, vcc_lo
	v_cmp_gt_i32_e32 vcc_lo, 31, v10
	s_wait_alu 0xfffd
	v_cndmask_b32_e32 v4, 0x7c00, v4, vcc_lo
	v_cmp_eq_u32_e32 vcc_lo, 0x40f, v8
	s_wait_alu 0xfffd
	v_cndmask_b32_e32 v2, v9, v2, vcc_lo
	v_cmp_eq_u32_e32 vcc_lo, 0x40f, v10
	s_delay_alu instid0(VALU_DEP_2)
	v_and_or_b32 v2, 0x8000, v5, v2
	s_wait_alu 0xfffd
	v_cndmask_b32_e32 v4, v4, v6, vcc_lo
	v_add_co_u32 v0, vcc_lo, v0, s4
	s_wait_alu 0xfffd
	v_add_co_ci_u32_e32 v1, vcc_lo, s5, v1, vcc_lo
	s_delay_alu instid0(VALU_DEP_3) | instskip(SKIP_1) | instid1(VALU_DEP_1)
	v_and_or_b32 v4, 0x8000, v7, v4
	v_and_b32_e32 v2, 0xffff, v2
	v_lshl_or_b32 v2, v4, 16, v2
	v_lshrrev_b32_e32 v4, 16, v3
	global_store_b32 v[0:1], v2, off
	global_load_b32 v2, v63, s[12:13] offset:840
	s_wait_loadcnt 0x0
	v_lshrrev_b32_e32 v5, 16, v2
	s_delay_alu instid0(VALU_DEP_1) | instskip(SKIP_1) | instid1(VALU_DEP_2)
	v_mul_f16_e32 v6, v4, v5
	v_mul_f16_e32 v5, v3, v5
	v_fmac_f16_e32 v6, v3, v2
	s_delay_alu instid0(VALU_DEP_2) | instskip(NEXT) | instid1(VALU_DEP_2)
	v_fma_f16 v2, v2, v4, -v5
	v_cvt_f32_f16_e32 v3, v6
	s_delay_alu instid0(VALU_DEP_2) | instskip(NEXT) | instid1(VALU_DEP_2)
	v_cvt_f32_f16_e32 v4, v2
	v_cvt_f64_f32_e32 v[2:3], v3
	s_delay_alu instid0(VALU_DEP_2) | instskip(NEXT) | instid1(VALU_DEP_2)
	v_cvt_f64_f32_e32 v[4:5], v4
	v_mul_f64_e32 v[2:3], s[8:9], v[2:3]
	s_delay_alu instid0(VALU_DEP_2) | instskip(NEXT) | instid1(VALU_DEP_2)
	v_mul_f64_e32 v[4:5], s[8:9], v[4:5]
	v_and_or_b32 v2, 0x1ff, v3, v2
	s_delay_alu instid0(VALU_DEP_2)
	v_and_or_b32 v4, 0x1ff, v5, v4
	v_lshrrev_b32_e32 v6, 8, v3
	v_bfe_u32 v7, v3, 20, 11
	v_lshrrev_b32_e32 v8, 8, v5
	v_cmp_ne_u32_e32 vcc_lo, 0, v2
	v_bfe_u32 v9, v5, 20, 11
	v_lshrrev_b32_e32 v3, 16, v3
	v_sub_nc_u32_e32 v10, 0x3f1, v7
	v_add_nc_u32_e32 v7, 0xfffffc10, v7
	s_wait_alu 0xfffd
	v_cndmask_b32_e64 v2, 0, 1, vcc_lo
	v_cmp_ne_u32_e32 vcc_lo, 0, v4
	v_lshrrev_b32_e32 v5, 16, v5
	s_delay_alu instid0(VALU_DEP_3) | instskip(SKIP_4) | instid1(VALU_DEP_3)
	v_and_or_b32 v2, 0xffe, v6, v2
	s_wait_alu 0xfffd
	v_cndmask_b32_e64 v4, 0, 1, vcc_lo
	v_sub_nc_u32_e32 v6, 0x3f1, v9
	v_add_nc_u32_e32 v9, 0xfffffc10, v9
	v_and_or_b32 v4, 0xffe, v8, v4
	v_med3_i32 v8, v10, 0, 13
	v_or_b32_e32 v10, 0x1000, v2
	v_med3_i32 v6, v6, 0, 13
	s_delay_alu instid0(VALU_DEP_4) | instskip(NEXT) | instid1(VALU_DEP_3)
	v_or_b32_e32 v11, 0x1000, v4
	v_lshrrev_b32_e32 v12, v8, v10
	s_delay_alu instid0(VALU_DEP_2) | instskip(NEXT) | instid1(VALU_DEP_2)
	v_lshrrev_b32_e32 v13, v6, v11
	v_lshlrev_b32_e32 v8, v8, v12
	s_delay_alu instid0(VALU_DEP_2) | instskip(NEXT) | instid1(VALU_DEP_2)
	v_lshlrev_b32_e32 v6, v6, v13
	v_cmp_ne_u32_e32 vcc_lo, v8, v10
	v_lshl_or_b32 v10, v7, 12, v2
	s_wait_alu 0xfffd
	v_cndmask_b32_e64 v8, 0, 1, vcc_lo
	v_cmp_ne_u32_e32 vcc_lo, v6, v11
	v_lshl_or_b32 v11, v9, 12, v4
	s_delay_alu instid0(VALU_DEP_3) | instskip(SKIP_3) | instid1(VALU_DEP_2)
	v_or_b32_e32 v8, v12, v8
	s_wait_alu 0xfffd
	v_cndmask_b32_e64 v6, 0, 1, vcc_lo
	v_cmp_gt_i32_e32 vcc_lo, 1, v7
	v_or_b32_e32 v6, v13, v6
	s_wait_alu 0xfffd
	v_cndmask_b32_e32 v8, v10, v8, vcc_lo
	v_cmp_gt_i32_e32 vcc_lo, 1, v9
	s_delay_alu instid0(VALU_DEP_2)
	v_and_b32_e32 v10, 7, v8
	s_wait_alu 0xfffd
	v_cndmask_b32_e32 v6, v11, v6, vcc_lo
	v_cmp_ne_u32_e32 vcc_lo, 0, v2
	v_lshrrev_b32_e32 v8, 2, v8
	v_cmp_eq_u32_e64 s0, 3, v10
	s_delay_alu instid0(VALU_DEP_4)
	v_and_b32_e32 v11, 7, v6
	s_wait_alu 0xfffd
	v_cndmask_b32_e64 v2, 0, 1, vcc_lo
	v_cmp_ne_u32_e32 vcc_lo, 0, v4
	v_lshrrev_b32_e32 v6, 2, v6
	v_cmp_lt_i32_e64 s1, 5, v11
	v_cmp_eq_u32_e64 s2, 3, v11
	s_wait_alu 0xfffd
	v_cndmask_b32_e64 v4, 0, 1, vcc_lo
	v_cmp_lt_i32_e32 vcc_lo, 5, v10
	v_lshl_or_b32 v2, v2, 9, 0x7c00
	s_delay_alu instid0(VALU_DEP_3)
	v_lshl_or_b32 v4, v4, 9, 0x7c00
	s_or_b32 vcc_lo, s0, vcc_lo
	s_wait_alu 0xfffe
	v_add_co_ci_u32_e32 v8, vcc_lo, 0, v8, vcc_lo
	s_or_b32 vcc_lo, s2, s1
	s_wait_alu 0xfffe
	v_add_co_ci_u32_e32 v6, vcc_lo, 0, v6, vcc_lo
	v_cmp_gt_i32_e32 vcc_lo, 31, v7
	s_wait_alu 0xfffd
	v_cndmask_b32_e32 v8, 0x7c00, v8, vcc_lo
	v_cmp_gt_i32_e32 vcc_lo, 31, v9
	s_wait_alu 0xfffd
	v_cndmask_b32_e32 v6, 0x7c00, v6, vcc_lo
	v_cmp_eq_u32_e32 vcc_lo, 0x40f, v7
	s_wait_alu 0xfffd
	v_cndmask_b32_e32 v2, v8, v2, vcc_lo
	v_cmp_eq_u32_e32 vcc_lo, 0x40f, v9
	s_delay_alu instid0(VALU_DEP_2)
	v_and_or_b32 v2, 0x8000, v3, v2
	s_wait_alu 0xfffd
	v_cndmask_b32_e32 v4, v6, v4, vcc_lo
	v_add_co_u32 v0, vcc_lo, v0, s4
	s_wait_alu 0xfffd
	v_add_co_ci_u32_e32 v1, vcc_lo, s5, v1, vcc_lo
	s_delay_alu instid0(VALU_DEP_3) | instskip(SKIP_1) | instid1(VALU_DEP_1)
	v_and_or_b32 v3, 0x8000, v5, v4
	v_and_b32_e32 v2, 0xffff, v2
	v_lshl_or_b32 v2, v3, 16, v2
	global_store_b32 v[0:1], v2, off
	global_load_b32 v4, v63, s[12:13] offset:1260
	v_add_nc_u32_e32 v2, 0x400, v63
	ds_load_2addr_b32 v[2:3], v2 offset0:59 offset1:164
	s_wait_dscnt 0x0
	v_lshrrev_b32_e32 v5, 16, v2
	s_wait_loadcnt 0x0
	v_lshrrev_b32_e32 v6, 16, v4
	s_delay_alu instid0(VALU_DEP_1) | instskip(SKIP_1) | instid1(VALU_DEP_2)
	v_mul_f16_e32 v7, v5, v6
	v_mul_f16_e32 v6, v2, v6
	v_fmac_f16_e32 v7, v2, v4
	s_delay_alu instid0(VALU_DEP_2) | instskip(NEXT) | instid1(VALU_DEP_2)
	v_fma_f16 v2, v4, v5, -v6
	v_cvt_f32_f16_e32 v4, v7
	s_delay_alu instid0(VALU_DEP_2) | instskip(NEXT) | instid1(VALU_DEP_2)
	v_cvt_f32_f16_e32 v2, v2
	v_cvt_f64_f32_e32 v[4:5], v4
	s_delay_alu instid0(VALU_DEP_2) | instskip(NEXT) | instid1(VALU_DEP_2)
	v_cvt_f64_f32_e32 v[6:7], v2
	v_mul_f64_e32 v[4:5], s[8:9], v[4:5]
	s_delay_alu instid0(VALU_DEP_2) | instskip(NEXT) | instid1(VALU_DEP_2)
	v_mul_f64_e32 v[6:7], s[8:9], v[6:7]
	v_and_or_b32 v2, 0x1ff, v5, v4
	s_delay_alu instid0(VALU_DEP_2)
	v_and_or_b32 v6, 0x1ff, v7, v6
	v_lshrrev_b32_e32 v4, 8, v5
	v_bfe_u32 v8, v5, 20, 11
	v_lshrrev_b32_e32 v9, 8, v7
	v_cmp_ne_u32_e32 vcc_lo, 0, v2
	v_bfe_u32 v10, v7, 20, 11
	v_lshrrev_b32_e32 v5, 16, v5
	v_sub_nc_u32_e32 v11, 0x3f1, v8
	v_add_nc_u32_e32 v8, 0xfffffc10, v8
	s_wait_alu 0xfffd
	v_cndmask_b32_e64 v2, 0, 1, vcc_lo
	v_cmp_ne_u32_e32 vcc_lo, 0, v6
	v_lshrrev_b32_e32 v7, 16, v7
	s_delay_alu instid0(VALU_DEP_3) | instskip(SKIP_4) | instid1(VALU_DEP_3)
	v_and_or_b32 v2, 0xffe, v4, v2
	s_wait_alu 0xfffd
	v_cndmask_b32_e64 v6, 0, 1, vcc_lo
	v_sub_nc_u32_e32 v4, 0x3f1, v10
	v_add_nc_u32_e32 v10, 0xfffffc10, v10
	v_and_or_b32 v6, 0xffe, v9, v6
	v_med3_i32 v9, v11, 0, 13
	v_or_b32_e32 v11, 0x1000, v2
	v_med3_i32 v4, v4, 0, 13
	s_delay_alu instid0(VALU_DEP_4) | instskip(NEXT) | instid1(VALU_DEP_3)
	v_or_b32_e32 v12, 0x1000, v6
	v_lshrrev_b32_e32 v13, v9, v11
	s_delay_alu instid0(VALU_DEP_2) | instskip(NEXT) | instid1(VALU_DEP_2)
	v_lshrrev_b32_e32 v14, v4, v12
	v_lshlrev_b32_e32 v9, v9, v13
	s_delay_alu instid0(VALU_DEP_2) | instskip(NEXT) | instid1(VALU_DEP_2)
	v_lshlrev_b32_e32 v4, v4, v14
	v_cmp_ne_u32_e32 vcc_lo, v9, v11
	v_lshl_or_b32 v11, v8, 12, v2
	s_wait_alu 0xfffd
	v_cndmask_b32_e64 v9, 0, 1, vcc_lo
	v_cmp_ne_u32_e32 vcc_lo, v4, v12
	v_lshl_or_b32 v12, v10, 12, v6
	s_delay_alu instid0(VALU_DEP_3) | instskip(SKIP_3) | instid1(VALU_DEP_2)
	v_or_b32_e32 v9, v13, v9
	s_wait_alu 0xfffd
	v_cndmask_b32_e64 v4, 0, 1, vcc_lo
	v_cmp_gt_i32_e32 vcc_lo, 1, v8
	v_or_b32_e32 v4, v14, v4
	s_wait_alu 0xfffd
	v_cndmask_b32_e32 v9, v11, v9, vcc_lo
	v_cmp_gt_i32_e32 vcc_lo, 1, v10
	s_wait_alu 0xfffd
	s_delay_alu instid0(VALU_DEP_2) | instskip(SKIP_2) | instid1(VALU_DEP_3)
	v_dual_cndmask_b32 v4, v12, v4 :: v_dual_and_b32 v11, 7, v9
	v_cmp_ne_u32_e32 vcc_lo, 0, v2
	v_lshrrev_b32_e32 v9, 2, v9
	v_cmp_eq_u32_e64 s0, 3, v11
	s_delay_alu instid0(VALU_DEP_4)
	v_and_b32_e32 v12, 7, v4
	s_wait_alu 0xfffd
	v_cndmask_b32_e64 v2, 0, 1, vcc_lo
	v_cmp_ne_u32_e32 vcc_lo, 0, v6
	v_lshrrev_b32_e32 v4, 2, v4
	v_cmp_lt_i32_e64 s1, 5, v12
	v_cmp_eq_u32_e64 s2, 3, v12
	s_wait_alu 0xfffd
	v_cndmask_b32_e64 v6, 0, 1, vcc_lo
	v_cmp_lt_i32_e32 vcc_lo, 5, v11
	v_lshl_or_b32 v2, v2, 9, 0x7c00
	s_delay_alu instid0(VALU_DEP_3)
	v_lshl_or_b32 v6, v6, 9, 0x7c00
	s_or_b32 vcc_lo, s0, vcc_lo
	s_wait_alu 0xfffe
	v_add_co_ci_u32_e32 v9, vcc_lo, 0, v9, vcc_lo
	s_or_b32 vcc_lo, s2, s1
	s_wait_alu 0xfffe
	v_add_co_ci_u32_e32 v4, vcc_lo, 0, v4, vcc_lo
	v_cmp_gt_i32_e32 vcc_lo, 31, v8
	s_wait_alu 0xfffd
	v_cndmask_b32_e32 v9, 0x7c00, v9, vcc_lo
	v_cmp_gt_i32_e32 vcc_lo, 31, v10
	s_wait_alu 0xfffd
	v_cndmask_b32_e32 v4, 0x7c00, v4, vcc_lo
	v_cmp_eq_u32_e32 vcc_lo, 0x40f, v8
	s_wait_alu 0xfffd
	v_cndmask_b32_e32 v2, v9, v2, vcc_lo
	v_cmp_eq_u32_e32 vcc_lo, 0x40f, v10
	s_delay_alu instid0(VALU_DEP_2)
	v_and_or_b32 v2, 0x8000, v5, v2
	s_wait_alu 0xfffd
	v_cndmask_b32_e32 v4, v4, v6, vcc_lo
	v_add_co_u32 v0, vcc_lo, v0, s4
	s_wait_alu 0xfffd
	v_add_co_ci_u32_e32 v1, vcc_lo, s5, v1, vcc_lo
	s_delay_alu instid0(VALU_DEP_3) | instskip(SKIP_1) | instid1(VALU_DEP_1)
	v_and_or_b32 v4, 0x8000, v7, v4
	v_and_b32_e32 v2, 0xffff, v2
	v_lshl_or_b32 v2, v4, 16, v2
	v_lshrrev_b32_e32 v4, 16, v3
	global_store_b32 v[0:1], v2, off
	global_load_b32 v2, v63, s[12:13] offset:1680
	s_wait_loadcnt 0x0
	v_lshrrev_b32_e32 v5, 16, v2
	s_delay_alu instid0(VALU_DEP_1) | instskip(SKIP_1) | instid1(VALU_DEP_2)
	v_mul_f16_e32 v6, v4, v5
	v_mul_f16_e32 v5, v3, v5
	v_fmac_f16_e32 v6, v3, v2
	s_delay_alu instid0(VALU_DEP_2) | instskip(NEXT) | instid1(VALU_DEP_2)
	v_fma_f16 v2, v2, v4, -v5
	v_cvt_f32_f16_e32 v3, v6
	s_delay_alu instid0(VALU_DEP_2) | instskip(NEXT) | instid1(VALU_DEP_2)
	v_cvt_f32_f16_e32 v4, v2
	v_cvt_f64_f32_e32 v[2:3], v3
	s_delay_alu instid0(VALU_DEP_2) | instskip(NEXT) | instid1(VALU_DEP_2)
	v_cvt_f64_f32_e32 v[4:5], v4
	v_mul_f64_e32 v[2:3], s[8:9], v[2:3]
	s_delay_alu instid0(VALU_DEP_2) | instskip(NEXT) | instid1(VALU_DEP_2)
	v_mul_f64_e32 v[4:5], s[8:9], v[4:5]
	v_and_or_b32 v2, 0x1ff, v3, v2
	s_delay_alu instid0(VALU_DEP_2)
	v_and_or_b32 v4, 0x1ff, v5, v4
	v_lshrrev_b32_e32 v6, 8, v3
	v_bfe_u32 v7, v3, 20, 11
	v_lshrrev_b32_e32 v8, 8, v5
	v_cmp_ne_u32_e32 vcc_lo, 0, v2
	v_bfe_u32 v9, v5, 20, 11
	v_lshrrev_b32_e32 v3, 16, v3
	v_sub_nc_u32_e32 v10, 0x3f1, v7
	v_add_nc_u32_e32 v7, 0xfffffc10, v7
	s_wait_alu 0xfffd
	v_cndmask_b32_e64 v2, 0, 1, vcc_lo
	v_cmp_ne_u32_e32 vcc_lo, 0, v4
	v_lshrrev_b32_e32 v5, 16, v5
	s_delay_alu instid0(VALU_DEP_3) | instskip(SKIP_4) | instid1(VALU_DEP_3)
	v_and_or_b32 v2, 0xffe, v6, v2
	s_wait_alu 0xfffd
	v_cndmask_b32_e64 v4, 0, 1, vcc_lo
	v_sub_nc_u32_e32 v6, 0x3f1, v9
	v_add_nc_u32_e32 v9, 0xfffffc10, v9
	v_and_or_b32 v4, 0xffe, v8, v4
	v_med3_i32 v8, v10, 0, 13
	v_or_b32_e32 v10, 0x1000, v2
	v_med3_i32 v6, v6, 0, 13
	s_delay_alu instid0(VALU_DEP_4) | instskip(NEXT) | instid1(VALU_DEP_3)
	v_or_b32_e32 v11, 0x1000, v4
	v_lshrrev_b32_e32 v12, v8, v10
	s_delay_alu instid0(VALU_DEP_2) | instskip(NEXT) | instid1(VALU_DEP_2)
	v_lshrrev_b32_e32 v13, v6, v11
	v_lshlrev_b32_e32 v8, v8, v12
	s_delay_alu instid0(VALU_DEP_2) | instskip(NEXT) | instid1(VALU_DEP_2)
	v_lshlrev_b32_e32 v6, v6, v13
	v_cmp_ne_u32_e32 vcc_lo, v8, v10
	v_lshl_or_b32 v10, v7, 12, v2
	s_wait_alu 0xfffd
	v_cndmask_b32_e64 v8, 0, 1, vcc_lo
	v_cmp_ne_u32_e32 vcc_lo, v6, v11
	v_lshl_or_b32 v11, v9, 12, v4
	s_delay_alu instid0(VALU_DEP_3) | instskip(SKIP_3) | instid1(VALU_DEP_2)
	v_or_b32_e32 v8, v12, v8
	s_wait_alu 0xfffd
	v_cndmask_b32_e64 v6, 0, 1, vcc_lo
	v_cmp_gt_i32_e32 vcc_lo, 1, v7
	v_or_b32_e32 v6, v13, v6
	s_wait_alu 0xfffd
	v_cndmask_b32_e32 v8, v10, v8, vcc_lo
	v_cmp_gt_i32_e32 vcc_lo, 1, v9
	s_delay_alu instid0(VALU_DEP_2)
	v_and_b32_e32 v10, 7, v8
	s_wait_alu 0xfffd
	v_cndmask_b32_e32 v6, v11, v6, vcc_lo
	v_cmp_ne_u32_e32 vcc_lo, 0, v2
	v_lshrrev_b32_e32 v8, 2, v8
	v_cmp_eq_u32_e64 s0, 3, v10
	s_delay_alu instid0(VALU_DEP_4)
	v_and_b32_e32 v11, 7, v6
	s_wait_alu 0xfffd
	v_cndmask_b32_e64 v2, 0, 1, vcc_lo
	v_cmp_ne_u32_e32 vcc_lo, 0, v4
	v_lshrrev_b32_e32 v6, 2, v6
	v_cmp_lt_i32_e64 s1, 5, v11
	v_cmp_eq_u32_e64 s2, 3, v11
	s_wait_alu 0xfffd
	v_cndmask_b32_e64 v4, 0, 1, vcc_lo
	v_cmp_lt_i32_e32 vcc_lo, 5, v10
	v_lshl_or_b32 v2, v2, 9, 0x7c00
	s_delay_alu instid0(VALU_DEP_3)
	v_lshl_or_b32 v4, v4, 9, 0x7c00
	s_or_b32 vcc_lo, s0, vcc_lo
	s_wait_alu 0xfffe
	v_add_co_ci_u32_e32 v8, vcc_lo, 0, v8, vcc_lo
	s_or_b32 vcc_lo, s2, s1
	s_wait_alu 0xfffe
	v_add_co_ci_u32_e32 v6, vcc_lo, 0, v6, vcc_lo
	v_cmp_gt_i32_e32 vcc_lo, 31, v7
	s_wait_alu 0xfffd
	v_cndmask_b32_e32 v8, 0x7c00, v8, vcc_lo
	v_cmp_gt_i32_e32 vcc_lo, 31, v9
	s_wait_alu 0xfffd
	v_cndmask_b32_e32 v6, 0x7c00, v6, vcc_lo
	v_cmp_eq_u32_e32 vcc_lo, 0x40f, v7
	s_wait_alu 0xfffd
	v_cndmask_b32_e32 v2, v8, v2, vcc_lo
	v_cmp_eq_u32_e32 vcc_lo, 0x40f, v9
	s_delay_alu instid0(VALU_DEP_2)
	v_and_or_b32 v2, 0x8000, v3, v2
	s_wait_alu 0xfffd
	v_cndmask_b32_e32 v4, v6, v4, vcc_lo
	v_add_co_u32 v0, vcc_lo, v0, s4
	s_wait_alu 0xfffd
	v_add_co_ci_u32_e32 v1, vcc_lo, s5, v1, vcc_lo
	s_delay_alu instid0(VALU_DEP_3) | instskip(SKIP_1) | instid1(VALU_DEP_1)
	v_and_or_b32 v3, 0x8000, v5, v4
	v_and_b32_e32 v2, 0xffff, v2
	v_lshl_or_b32 v2, v3, 16, v2
	global_store_b32 v[0:1], v2, off
	global_load_b32 v4, v63, s[12:13] offset:2100
	v_add_nc_u32_e32 v2, 0x800, v63
	ds_load_2addr_b32 v[2:3], v2 offset0:13 offset1:118
	s_wait_dscnt 0x0
	v_lshrrev_b32_e32 v5, 16, v2
	s_wait_loadcnt 0x0
	v_lshrrev_b32_e32 v6, 16, v4
	s_delay_alu instid0(VALU_DEP_1) | instskip(SKIP_1) | instid1(VALU_DEP_2)
	v_mul_f16_e32 v7, v5, v6
	v_mul_f16_e32 v6, v2, v6
	v_fmac_f16_e32 v7, v2, v4
	s_delay_alu instid0(VALU_DEP_2) | instskip(NEXT) | instid1(VALU_DEP_2)
	v_fma_f16 v2, v4, v5, -v6
	v_cvt_f32_f16_e32 v4, v7
	s_delay_alu instid0(VALU_DEP_2) | instskip(NEXT) | instid1(VALU_DEP_2)
	v_cvt_f32_f16_e32 v2, v2
	v_cvt_f64_f32_e32 v[4:5], v4
	s_delay_alu instid0(VALU_DEP_2) | instskip(NEXT) | instid1(VALU_DEP_2)
	v_cvt_f64_f32_e32 v[6:7], v2
	v_mul_f64_e32 v[4:5], s[8:9], v[4:5]
	s_delay_alu instid0(VALU_DEP_2) | instskip(NEXT) | instid1(VALU_DEP_2)
	v_mul_f64_e32 v[6:7], s[8:9], v[6:7]
	v_and_or_b32 v2, 0x1ff, v5, v4
	s_delay_alu instid0(VALU_DEP_2)
	v_and_or_b32 v6, 0x1ff, v7, v6
	v_lshrrev_b32_e32 v4, 8, v5
	v_bfe_u32 v8, v5, 20, 11
	v_lshrrev_b32_e32 v9, 8, v7
	v_cmp_ne_u32_e32 vcc_lo, 0, v2
	v_bfe_u32 v10, v7, 20, 11
	v_lshrrev_b32_e32 v5, 16, v5
	v_sub_nc_u32_e32 v11, 0x3f1, v8
	v_add_nc_u32_e32 v8, 0xfffffc10, v8
	s_wait_alu 0xfffd
	v_cndmask_b32_e64 v2, 0, 1, vcc_lo
	v_cmp_ne_u32_e32 vcc_lo, 0, v6
	v_lshrrev_b32_e32 v7, 16, v7
	s_delay_alu instid0(VALU_DEP_3) | instskip(SKIP_4) | instid1(VALU_DEP_3)
	v_and_or_b32 v2, 0xffe, v4, v2
	s_wait_alu 0xfffd
	v_cndmask_b32_e64 v6, 0, 1, vcc_lo
	v_sub_nc_u32_e32 v4, 0x3f1, v10
	v_add_nc_u32_e32 v10, 0xfffffc10, v10
	v_and_or_b32 v6, 0xffe, v9, v6
	v_med3_i32 v9, v11, 0, 13
	v_or_b32_e32 v11, 0x1000, v2
	v_med3_i32 v4, v4, 0, 13
	s_delay_alu instid0(VALU_DEP_4) | instskip(NEXT) | instid1(VALU_DEP_3)
	v_or_b32_e32 v12, 0x1000, v6
	v_lshrrev_b32_e32 v13, v9, v11
	s_delay_alu instid0(VALU_DEP_2) | instskip(NEXT) | instid1(VALU_DEP_2)
	v_lshrrev_b32_e32 v14, v4, v12
	v_lshlrev_b32_e32 v9, v9, v13
	s_delay_alu instid0(VALU_DEP_2) | instskip(NEXT) | instid1(VALU_DEP_2)
	v_lshlrev_b32_e32 v4, v4, v14
	v_cmp_ne_u32_e32 vcc_lo, v9, v11
	v_lshl_or_b32 v11, v8, 12, v2
	s_wait_alu 0xfffd
	v_cndmask_b32_e64 v9, 0, 1, vcc_lo
	v_cmp_ne_u32_e32 vcc_lo, v4, v12
	v_lshl_or_b32 v12, v10, 12, v6
	s_delay_alu instid0(VALU_DEP_3) | instskip(SKIP_3) | instid1(VALU_DEP_2)
	v_or_b32_e32 v9, v13, v9
	s_wait_alu 0xfffd
	v_cndmask_b32_e64 v4, 0, 1, vcc_lo
	v_cmp_gt_i32_e32 vcc_lo, 1, v8
	v_or_b32_e32 v4, v14, v4
	s_wait_alu 0xfffd
	v_cndmask_b32_e32 v9, v11, v9, vcc_lo
	v_cmp_gt_i32_e32 vcc_lo, 1, v10
	s_wait_alu 0xfffd
	s_delay_alu instid0(VALU_DEP_2) | instskip(SKIP_2) | instid1(VALU_DEP_3)
	v_dual_cndmask_b32 v4, v12, v4 :: v_dual_and_b32 v11, 7, v9
	v_cmp_ne_u32_e32 vcc_lo, 0, v2
	v_lshrrev_b32_e32 v9, 2, v9
	v_cmp_eq_u32_e64 s0, 3, v11
	s_delay_alu instid0(VALU_DEP_4)
	v_and_b32_e32 v12, 7, v4
	s_wait_alu 0xfffd
	v_cndmask_b32_e64 v2, 0, 1, vcc_lo
	v_cmp_ne_u32_e32 vcc_lo, 0, v6
	v_lshrrev_b32_e32 v4, 2, v4
	v_cmp_lt_i32_e64 s1, 5, v12
	v_cmp_eq_u32_e64 s2, 3, v12
	s_wait_alu 0xfffd
	v_cndmask_b32_e64 v6, 0, 1, vcc_lo
	v_cmp_lt_i32_e32 vcc_lo, 5, v11
	v_lshl_or_b32 v2, v2, 9, 0x7c00
	s_delay_alu instid0(VALU_DEP_3)
	v_lshl_or_b32 v6, v6, 9, 0x7c00
	s_or_b32 vcc_lo, s0, vcc_lo
	s_wait_alu 0xfffe
	v_add_co_ci_u32_e32 v9, vcc_lo, 0, v9, vcc_lo
	s_or_b32 vcc_lo, s2, s1
	s_wait_alu 0xfffe
	v_add_co_ci_u32_e32 v4, vcc_lo, 0, v4, vcc_lo
	v_cmp_gt_i32_e32 vcc_lo, 31, v8
	s_wait_alu 0xfffd
	v_cndmask_b32_e32 v9, 0x7c00, v9, vcc_lo
	v_cmp_gt_i32_e32 vcc_lo, 31, v10
	s_wait_alu 0xfffd
	v_cndmask_b32_e32 v4, 0x7c00, v4, vcc_lo
	v_cmp_eq_u32_e32 vcc_lo, 0x40f, v8
	s_wait_alu 0xfffd
	v_cndmask_b32_e32 v2, v9, v2, vcc_lo
	v_cmp_eq_u32_e32 vcc_lo, 0x40f, v10
	s_delay_alu instid0(VALU_DEP_2)
	v_and_or_b32 v2, 0x8000, v5, v2
	s_wait_alu 0xfffd
	v_cndmask_b32_e32 v4, v4, v6, vcc_lo
	v_add_co_u32 v0, vcc_lo, v0, s4
	s_wait_alu 0xfffd
	v_add_co_ci_u32_e32 v1, vcc_lo, s5, v1, vcc_lo
	s_delay_alu instid0(VALU_DEP_3) | instskip(SKIP_1) | instid1(VALU_DEP_1)
	v_and_or_b32 v4, 0x8000, v7, v4
	v_and_b32_e32 v2, 0xffff, v2
	v_lshl_or_b32 v2, v4, 16, v2
	v_lshrrev_b32_e32 v4, 16, v3
	global_store_b32 v[0:1], v2, off
	global_load_b32 v2, v63, s[12:13] offset:2520
	s_wait_loadcnt 0x0
	v_lshrrev_b32_e32 v5, 16, v2
	s_delay_alu instid0(VALU_DEP_1) | instskip(SKIP_1) | instid1(VALU_DEP_2)
	v_mul_f16_e32 v6, v4, v5
	v_mul_f16_e32 v5, v3, v5
	v_fmac_f16_e32 v6, v3, v2
	s_delay_alu instid0(VALU_DEP_2) | instskip(NEXT) | instid1(VALU_DEP_2)
	v_fma_f16 v2, v2, v4, -v5
	v_cvt_f32_f16_e32 v3, v6
	s_delay_alu instid0(VALU_DEP_2) | instskip(NEXT) | instid1(VALU_DEP_2)
	v_cvt_f32_f16_e32 v4, v2
	v_cvt_f64_f32_e32 v[2:3], v3
	s_delay_alu instid0(VALU_DEP_2) | instskip(NEXT) | instid1(VALU_DEP_2)
	v_cvt_f64_f32_e32 v[4:5], v4
	v_mul_f64_e32 v[2:3], s[8:9], v[2:3]
	s_delay_alu instid0(VALU_DEP_2) | instskip(NEXT) | instid1(VALU_DEP_2)
	v_mul_f64_e32 v[4:5], s[8:9], v[4:5]
	v_and_or_b32 v2, 0x1ff, v3, v2
	s_delay_alu instid0(VALU_DEP_2)
	v_and_or_b32 v4, 0x1ff, v5, v4
	v_lshrrev_b32_e32 v6, 8, v3
	v_bfe_u32 v7, v3, 20, 11
	v_lshrrev_b32_e32 v8, 8, v5
	v_cmp_ne_u32_e32 vcc_lo, 0, v2
	v_bfe_u32 v9, v5, 20, 11
	v_lshrrev_b32_e32 v3, 16, v3
	v_sub_nc_u32_e32 v10, 0x3f1, v7
	v_add_nc_u32_e32 v7, 0xfffffc10, v7
	s_wait_alu 0xfffd
	v_cndmask_b32_e64 v2, 0, 1, vcc_lo
	v_cmp_ne_u32_e32 vcc_lo, 0, v4
	v_lshrrev_b32_e32 v5, 16, v5
	s_delay_alu instid0(VALU_DEP_3) | instskip(SKIP_4) | instid1(VALU_DEP_3)
	v_and_or_b32 v2, 0xffe, v6, v2
	s_wait_alu 0xfffd
	v_cndmask_b32_e64 v4, 0, 1, vcc_lo
	v_sub_nc_u32_e32 v6, 0x3f1, v9
	v_add_nc_u32_e32 v9, 0xfffffc10, v9
	v_and_or_b32 v4, 0xffe, v8, v4
	v_med3_i32 v8, v10, 0, 13
	v_or_b32_e32 v10, 0x1000, v2
	v_med3_i32 v6, v6, 0, 13
	s_delay_alu instid0(VALU_DEP_4) | instskip(NEXT) | instid1(VALU_DEP_3)
	v_or_b32_e32 v11, 0x1000, v4
	v_lshrrev_b32_e32 v12, v8, v10
	s_delay_alu instid0(VALU_DEP_2) | instskip(NEXT) | instid1(VALU_DEP_2)
	v_lshrrev_b32_e32 v13, v6, v11
	v_lshlrev_b32_e32 v8, v8, v12
	s_delay_alu instid0(VALU_DEP_2) | instskip(NEXT) | instid1(VALU_DEP_2)
	v_lshlrev_b32_e32 v6, v6, v13
	v_cmp_ne_u32_e32 vcc_lo, v8, v10
	v_lshl_or_b32 v10, v7, 12, v2
	s_wait_alu 0xfffd
	v_cndmask_b32_e64 v8, 0, 1, vcc_lo
	v_cmp_ne_u32_e32 vcc_lo, v6, v11
	v_lshl_or_b32 v11, v9, 12, v4
	s_delay_alu instid0(VALU_DEP_3) | instskip(SKIP_3) | instid1(VALU_DEP_2)
	v_or_b32_e32 v8, v12, v8
	s_wait_alu 0xfffd
	v_cndmask_b32_e64 v6, 0, 1, vcc_lo
	v_cmp_gt_i32_e32 vcc_lo, 1, v7
	v_or_b32_e32 v6, v13, v6
	s_wait_alu 0xfffd
	v_cndmask_b32_e32 v8, v10, v8, vcc_lo
	v_cmp_gt_i32_e32 vcc_lo, 1, v9
	s_delay_alu instid0(VALU_DEP_2)
	v_and_b32_e32 v10, 7, v8
	s_wait_alu 0xfffd
	v_cndmask_b32_e32 v6, v11, v6, vcc_lo
	v_cmp_ne_u32_e32 vcc_lo, 0, v2
	v_lshrrev_b32_e32 v8, 2, v8
	v_cmp_eq_u32_e64 s0, 3, v10
	s_delay_alu instid0(VALU_DEP_4)
	v_and_b32_e32 v11, 7, v6
	s_wait_alu 0xfffd
	v_cndmask_b32_e64 v2, 0, 1, vcc_lo
	v_cmp_ne_u32_e32 vcc_lo, 0, v4
	v_lshrrev_b32_e32 v6, 2, v6
	v_cmp_lt_i32_e64 s1, 5, v11
	v_cmp_eq_u32_e64 s2, 3, v11
	s_wait_alu 0xfffd
	v_cndmask_b32_e64 v4, 0, 1, vcc_lo
	v_cmp_lt_i32_e32 vcc_lo, 5, v10
	v_lshl_or_b32 v2, v2, 9, 0x7c00
	s_delay_alu instid0(VALU_DEP_3)
	v_lshl_or_b32 v4, v4, 9, 0x7c00
	s_or_b32 vcc_lo, s0, vcc_lo
	s_wait_alu 0xfffe
	v_add_co_ci_u32_e32 v8, vcc_lo, 0, v8, vcc_lo
	s_or_b32 vcc_lo, s2, s1
	s_wait_alu 0xfffe
	v_add_co_ci_u32_e32 v6, vcc_lo, 0, v6, vcc_lo
	v_cmp_gt_i32_e32 vcc_lo, 31, v7
	s_wait_alu 0xfffd
	v_cndmask_b32_e32 v8, 0x7c00, v8, vcc_lo
	v_cmp_gt_i32_e32 vcc_lo, 31, v9
	s_wait_alu 0xfffd
	v_cndmask_b32_e32 v6, 0x7c00, v6, vcc_lo
	v_cmp_eq_u32_e32 vcc_lo, 0x40f, v7
	s_wait_alu 0xfffd
	v_cndmask_b32_e32 v2, v8, v2, vcc_lo
	v_cmp_eq_u32_e32 vcc_lo, 0x40f, v9
	s_delay_alu instid0(VALU_DEP_2)
	v_and_or_b32 v2, 0x8000, v3, v2
	s_wait_alu 0xfffd
	v_cndmask_b32_e32 v4, v6, v4, vcc_lo
	v_add_co_u32 v0, vcc_lo, v0, s4
	s_wait_alu 0xfffd
	v_add_co_ci_u32_e32 v1, vcc_lo, s5, v1, vcc_lo
	s_delay_alu instid0(VALU_DEP_3) | instskip(SKIP_1) | instid1(VALU_DEP_1)
	v_and_or_b32 v3, 0x8000, v5, v4
	v_and_b32_e32 v2, 0xffff, v2
	v_lshl_or_b32 v2, v3, 16, v2
	global_store_b32 v[0:1], v2, off
	global_load_b32 v4, v63, s[12:13] offset:2940
	v_add_nc_u32_e32 v2, 0xa00, v63
	ds_load_2addr_b32 v[2:3], v2 offset0:95 offset1:200
	s_wait_dscnt 0x0
	v_lshrrev_b32_e32 v5, 16, v2
	s_wait_loadcnt 0x0
	v_lshrrev_b32_e32 v6, 16, v4
	s_delay_alu instid0(VALU_DEP_1) | instskip(SKIP_1) | instid1(VALU_DEP_2)
	v_mul_f16_e32 v7, v5, v6
	v_mul_f16_e32 v6, v2, v6
	v_fmac_f16_e32 v7, v2, v4
	s_delay_alu instid0(VALU_DEP_2) | instskip(NEXT) | instid1(VALU_DEP_2)
	v_fma_f16 v2, v4, v5, -v6
	v_cvt_f32_f16_e32 v4, v7
	s_delay_alu instid0(VALU_DEP_2) | instskip(NEXT) | instid1(VALU_DEP_2)
	v_cvt_f32_f16_e32 v2, v2
	v_cvt_f64_f32_e32 v[4:5], v4
	s_delay_alu instid0(VALU_DEP_2) | instskip(NEXT) | instid1(VALU_DEP_2)
	v_cvt_f64_f32_e32 v[6:7], v2
	v_mul_f64_e32 v[4:5], s[8:9], v[4:5]
	s_delay_alu instid0(VALU_DEP_2) | instskip(NEXT) | instid1(VALU_DEP_2)
	v_mul_f64_e32 v[6:7], s[8:9], v[6:7]
	v_and_or_b32 v2, 0x1ff, v5, v4
	s_delay_alu instid0(VALU_DEP_2)
	v_and_or_b32 v6, 0x1ff, v7, v6
	v_lshrrev_b32_e32 v4, 8, v5
	v_bfe_u32 v8, v5, 20, 11
	v_lshrrev_b32_e32 v9, 8, v7
	v_cmp_ne_u32_e32 vcc_lo, 0, v2
	v_bfe_u32 v10, v7, 20, 11
	v_lshrrev_b32_e32 v5, 16, v5
	v_sub_nc_u32_e32 v11, 0x3f1, v8
	v_add_nc_u32_e32 v8, 0xfffffc10, v8
	s_wait_alu 0xfffd
	v_cndmask_b32_e64 v2, 0, 1, vcc_lo
	v_cmp_ne_u32_e32 vcc_lo, 0, v6
	v_lshrrev_b32_e32 v7, 16, v7
	s_delay_alu instid0(VALU_DEP_3) | instskip(SKIP_4) | instid1(VALU_DEP_3)
	v_and_or_b32 v2, 0xffe, v4, v2
	s_wait_alu 0xfffd
	v_cndmask_b32_e64 v6, 0, 1, vcc_lo
	v_sub_nc_u32_e32 v4, 0x3f1, v10
	v_add_nc_u32_e32 v10, 0xfffffc10, v10
	v_and_or_b32 v6, 0xffe, v9, v6
	v_med3_i32 v9, v11, 0, 13
	v_or_b32_e32 v11, 0x1000, v2
	v_med3_i32 v4, v4, 0, 13
	s_delay_alu instid0(VALU_DEP_4) | instskip(NEXT) | instid1(VALU_DEP_3)
	v_or_b32_e32 v12, 0x1000, v6
	v_lshrrev_b32_e32 v13, v9, v11
	s_delay_alu instid0(VALU_DEP_2) | instskip(NEXT) | instid1(VALU_DEP_2)
	v_lshrrev_b32_e32 v14, v4, v12
	v_lshlrev_b32_e32 v9, v9, v13
	s_delay_alu instid0(VALU_DEP_2) | instskip(NEXT) | instid1(VALU_DEP_2)
	v_lshlrev_b32_e32 v4, v4, v14
	v_cmp_ne_u32_e32 vcc_lo, v9, v11
	v_lshl_or_b32 v11, v8, 12, v2
	s_wait_alu 0xfffd
	v_cndmask_b32_e64 v9, 0, 1, vcc_lo
	v_cmp_ne_u32_e32 vcc_lo, v4, v12
	v_lshl_or_b32 v12, v10, 12, v6
	s_delay_alu instid0(VALU_DEP_3) | instskip(SKIP_3) | instid1(VALU_DEP_2)
	v_or_b32_e32 v9, v13, v9
	s_wait_alu 0xfffd
	v_cndmask_b32_e64 v4, 0, 1, vcc_lo
	v_cmp_gt_i32_e32 vcc_lo, 1, v8
	v_or_b32_e32 v4, v14, v4
	s_wait_alu 0xfffd
	v_cndmask_b32_e32 v9, v11, v9, vcc_lo
	v_cmp_gt_i32_e32 vcc_lo, 1, v10
	s_wait_alu 0xfffd
	s_delay_alu instid0(VALU_DEP_2) | instskip(SKIP_2) | instid1(VALU_DEP_3)
	v_dual_cndmask_b32 v4, v12, v4 :: v_dual_and_b32 v11, 7, v9
	v_cmp_ne_u32_e32 vcc_lo, 0, v2
	v_lshrrev_b32_e32 v9, 2, v9
	v_cmp_eq_u32_e64 s0, 3, v11
	s_delay_alu instid0(VALU_DEP_4)
	v_and_b32_e32 v12, 7, v4
	s_wait_alu 0xfffd
	v_cndmask_b32_e64 v2, 0, 1, vcc_lo
	v_cmp_ne_u32_e32 vcc_lo, 0, v6
	v_lshrrev_b32_e32 v4, 2, v4
	v_cmp_lt_i32_e64 s1, 5, v12
	v_cmp_eq_u32_e64 s2, 3, v12
	s_wait_alu 0xfffd
	v_cndmask_b32_e64 v6, 0, 1, vcc_lo
	v_cmp_lt_i32_e32 vcc_lo, 5, v11
	v_lshl_or_b32 v2, v2, 9, 0x7c00
	s_delay_alu instid0(VALU_DEP_3)
	v_lshl_or_b32 v6, v6, 9, 0x7c00
	s_or_b32 vcc_lo, s0, vcc_lo
	s_wait_alu 0xfffe
	v_add_co_ci_u32_e32 v9, vcc_lo, 0, v9, vcc_lo
	s_or_b32 vcc_lo, s2, s1
	s_wait_alu 0xfffe
	v_add_co_ci_u32_e32 v4, vcc_lo, 0, v4, vcc_lo
	v_cmp_gt_i32_e32 vcc_lo, 31, v8
	s_wait_alu 0xfffd
	v_cndmask_b32_e32 v9, 0x7c00, v9, vcc_lo
	v_cmp_gt_i32_e32 vcc_lo, 31, v10
	s_wait_alu 0xfffd
	v_cndmask_b32_e32 v4, 0x7c00, v4, vcc_lo
	v_cmp_eq_u32_e32 vcc_lo, 0x40f, v8
	s_wait_alu 0xfffd
	v_cndmask_b32_e32 v2, v9, v2, vcc_lo
	v_cmp_eq_u32_e32 vcc_lo, 0x40f, v10
	s_delay_alu instid0(VALU_DEP_2)
	v_and_or_b32 v2, 0x8000, v5, v2
	s_wait_alu 0xfffd
	v_cndmask_b32_e32 v4, v4, v6, vcc_lo
	v_add_co_u32 v0, vcc_lo, v0, s4
	s_wait_alu 0xfffd
	v_add_co_ci_u32_e32 v1, vcc_lo, s5, v1, vcc_lo
	s_delay_alu instid0(VALU_DEP_3) | instskip(SKIP_1) | instid1(VALU_DEP_1)
	v_and_or_b32 v4, 0x8000, v7, v4
	v_and_b32_e32 v2, 0xffff, v2
	v_lshl_or_b32 v2, v4, 16, v2
	v_lshrrev_b32_e32 v4, 16, v3
	global_store_b32 v[0:1], v2, off
	global_load_b32 v2, v63, s[12:13] offset:3360
	s_wait_loadcnt 0x0
	v_lshrrev_b32_e32 v5, 16, v2
	s_delay_alu instid0(VALU_DEP_1) | instskip(SKIP_1) | instid1(VALU_DEP_2)
	v_mul_f16_e32 v6, v4, v5
	v_mul_f16_e32 v5, v3, v5
	v_fmac_f16_e32 v6, v3, v2
	s_delay_alu instid0(VALU_DEP_2) | instskip(NEXT) | instid1(VALU_DEP_2)
	v_fma_f16 v2, v2, v4, -v5
	v_cvt_f32_f16_e32 v3, v6
	s_delay_alu instid0(VALU_DEP_2) | instskip(NEXT) | instid1(VALU_DEP_2)
	v_cvt_f32_f16_e32 v4, v2
	v_cvt_f64_f32_e32 v[2:3], v3
	s_delay_alu instid0(VALU_DEP_2) | instskip(NEXT) | instid1(VALU_DEP_2)
	v_cvt_f64_f32_e32 v[4:5], v4
	v_mul_f64_e32 v[2:3], s[8:9], v[2:3]
	s_delay_alu instid0(VALU_DEP_2) | instskip(NEXT) | instid1(VALU_DEP_2)
	v_mul_f64_e32 v[4:5], s[8:9], v[4:5]
	v_and_or_b32 v2, 0x1ff, v3, v2
	s_delay_alu instid0(VALU_DEP_2)
	v_and_or_b32 v4, 0x1ff, v5, v4
	v_lshrrev_b32_e32 v6, 8, v3
	v_bfe_u32 v7, v3, 20, 11
	v_lshrrev_b32_e32 v8, 8, v5
	v_cmp_ne_u32_e32 vcc_lo, 0, v2
	v_bfe_u32 v9, v5, 20, 11
	v_lshrrev_b32_e32 v3, 16, v3
	v_sub_nc_u32_e32 v10, 0x3f1, v7
	v_add_nc_u32_e32 v7, 0xfffffc10, v7
	s_wait_alu 0xfffd
	v_cndmask_b32_e64 v2, 0, 1, vcc_lo
	v_cmp_ne_u32_e32 vcc_lo, 0, v4
	v_lshrrev_b32_e32 v5, 16, v5
	s_delay_alu instid0(VALU_DEP_3) | instskip(SKIP_4) | instid1(VALU_DEP_3)
	v_and_or_b32 v2, 0xffe, v6, v2
	s_wait_alu 0xfffd
	v_cndmask_b32_e64 v4, 0, 1, vcc_lo
	v_sub_nc_u32_e32 v6, 0x3f1, v9
	v_add_nc_u32_e32 v9, 0xfffffc10, v9
	v_and_or_b32 v4, 0xffe, v8, v4
	v_med3_i32 v8, v10, 0, 13
	v_or_b32_e32 v10, 0x1000, v2
	v_med3_i32 v6, v6, 0, 13
	s_delay_alu instid0(VALU_DEP_4) | instskip(NEXT) | instid1(VALU_DEP_3)
	v_or_b32_e32 v11, 0x1000, v4
	v_lshrrev_b32_e32 v12, v8, v10
	s_delay_alu instid0(VALU_DEP_2) | instskip(NEXT) | instid1(VALU_DEP_2)
	v_lshrrev_b32_e32 v13, v6, v11
	v_lshlrev_b32_e32 v8, v8, v12
	s_delay_alu instid0(VALU_DEP_2) | instskip(NEXT) | instid1(VALU_DEP_2)
	v_lshlrev_b32_e32 v6, v6, v13
	v_cmp_ne_u32_e32 vcc_lo, v8, v10
	v_lshl_or_b32 v10, v7, 12, v2
	s_wait_alu 0xfffd
	v_cndmask_b32_e64 v8, 0, 1, vcc_lo
	v_cmp_ne_u32_e32 vcc_lo, v6, v11
	v_lshl_or_b32 v11, v9, 12, v4
	s_delay_alu instid0(VALU_DEP_3) | instskip(SKIP_3) | instid1(VALU_DEP_2)
	v_or_b32_e32 v8, v12, v8
	s_wait_alu 0xfffd
	v_cndmask_b32_e64 v6, 0, 1, vcc_lo
	v_cmp_gt_i32_e32 vcc_lo, 1, v7
	v_or_b32_e32 v6, v13, v6
	s_wait_alu 0xfffd
	v_cndmask_b32_e32 v8, v10, v8, vcc_lo
	v_cmp_gt_i32_e32 vcc_lo, 1, v9
	s_delay_alu instid0(VALU_DEP_2)
	v_and_b32_e32 v10, 7, v8
	s_wait_alu 0xfffd
	v_cndmask_b32_e32 v6, v11, v6, vcc_lo
	v_cmp_ne_u32_e32 vcc_lo, 0, v2
	v_lshrrev_b32_e32 v8, 2, v8
	v_cmp_eq_u32_e64 s0, 3, v10
	s_delay_alu instid0(VALU_DEP_4)
	v_and_b32_e32 v11, 7, v6
	s_wait_alu 0xfffd
	v_cndmask_b32_e64 v2, 0, 1, vcc_lo
	v_cmp_ne_u32_e32 vcc_lo, 0, v4
	v_lshrrev_b32_e32 v6, 2, v6
	v_cmp_lt_i32_e64 s1, 5, v11
	v_cmp_eq_u32_e64 s2, 3, v11
	s_wait_alu 0xfffd
	v_cndmask_b32_e64 v4, 0, 1, vcc_lo
	v_cmp_lt_i32_e32 vcc_lo, 5, v10
	v_lshl_or_b32 v2, v2, 9, 0x7c00
	s_delay_alu instid0(VALU_DEP_3)
	v_lshl_or_b32 v4, v4, 9, 0x7c00
	s_or_b32 vcc_lo, s0, vcc_lo
	s_wait_alu 0xfffe
	v_add_co_ci_u32_e32 v8, vcc_lo, 0, v8, vcc_lo
	s_or_b32 vcc_lo, s2, s1
	s_wait_alu 0xfffe
	v_add_co_ci_u32_e32 v6, vcc_lo, 0, v6, vcc_lo
	v_cmp_gt_i32_e32 vcc_lo, 31, v7
	s_wait_alu 0xfffd
	v_cndmask_b32_e32 v8, 0x7c00, v8, vcc_lo
	v_cmp_gt_i32_e32 vcc_lo, 31, v9
	s_wait_alu 0xfffd
	v_cndmask_b32_e32 v6, 0x7c00, v6, vcc_lo
	v_cmp_eq_u32_e32 vcc_lo, 0x40f, v7
	s_wait_alu 0xfffd
	v_cndmask_b32_e32 v2, v8, v2, vcc_lo
	v_cmp_eq_u32_e32 vcc_lo, 0x40f, v9
	s_delay_alu instid0(VALU_DEP_2)
	v_and_or_b32 v2, 0x8000, v3, v2
	s_wait_alu 0xfffd
	v_cndmask_b32_e32 v4, v6, v4, vcc_lo
	v_add_co_u32 v0, vcc_lo, v0, s4
	s_wait_alu 0xfffd
	v_add_co_ci_u32_e32 v1, vcc_lo, s5, v1, vcc_lo
	s_delay_alu instid0(VALU_DEP_3) | instskip(SKIP_1) | instid1(VALU_DEP_1)
	v_and_or_b32 v3, 0x8000, v5, v4
	v_and_b32_e32 v2, 0xffff, v2
	v_lshl_or_b32 v2, v3, 16, v2
	global_store_b32 v[0:1], v2, off
	global_load_b32 v4, v63, s[12:13] offset:3780
	v_add_nc_u32_e32 v2, 0xe00, v63
	ds_load_2addr_b32 v[2:3], v2 offset0:49 offset1:154
	s_wait_dscnt 0x0
	v_lshrrev_b32_e32 v5, 16, v2
	s_wait_loadcnt 0x0
	v_lshrrev_b32_e32 v6, 16, v4
	s_delay_alu instid0(VALU_DEP_1) | instskip(SKIP_1) | instid1(VALU_DEP_2)
	v_mul_f16_e32 v7, v5, v6
	v_mul_f16_e32 v6, v2, v6
	v_fmac_f16_e32 v7, v2, v4
	s_delay_alu instid0(VALU_DEP_2) | instskip(NEXT) | instid1(VALU_DEP_2)
	v_fma_f16 v2, v4, v5, -v6
	v_cvt_f32_f16_e32 v4, v7
	s_delay_alu instid0(VALU_DEP_2) | instskip(NEXT) | instid1(VALU_DEP_2)
	v_cvt_f32_f16_e32 v2, v2
	v_cvt_f64_f32_e32 v[4:5], v4
	s_delay_alu instid0(VALU_DEP_2) | instskip(NEXT) | instid1(VALU_DEP_2)
	v_cvt_f64_f32_e32 v[6:7], v2
	v_mul_f64_e32 v[4:5], s[8:9], v[4:5]
	s_delay_alu instid0(VALU_DEP_2) | instskip(NEXT) | instid1(VALU_DEP_2)
	v_mul_f64_e32 v[6:7], s[8:9], v[6:7]
	v_and_or_b32 v2, 0x1ff, v5, v4
	s_delay_alu instid0(VALU_DEP_2)
	v_and_or_b32 v6, 0x1ff, v7, v6
	v_lshrrev_b32_e32 v4, 8, v5
	v_bfe_u32 v8, v5, 20, 11
	v_lshrrev_b32_e32 v9, 8, v7
	v_cmp_ne_u32_e32 vcc_lo, 0, v2
	v_bfe_u32 v10, v7, 20, 11
	v_lshrrev_b32_e32 v5, 16, v5
	v_sub_nc_u32_e32 v11, 0x3f1, v8
	v_add_nc_u32_e32 v8, 0xfffffc10, v8
	s_wait_alu 0xfffd
	v_cndmask_b32_e64 v2, 0, 1, vcc_lo
	v_cmp_ne_u32_e32 vcc_lo, 0, v6
	v_lshrrev_b32_e32 v7, 16, v7
	s_delay_alu instid0(VALU_DEP_3) | instskip(SKIP_4) | instid1(VALU_DEP_3)
	v_and_or_b32 v2, 0xffe, v4, v2
	s_wait_alu 0xfffd
	v_cndmask_b32_e64 v6, 0, 1, vcc_lo
	v_sub_nc_u32_e32 v4, 0x3f1, v10
	v_add_nc_u32_e32 v10, 0xfffffc10, v10
	v_and_or_b32 v6, 0xffe, v9, v6
	v_med3_i32 v9, v11, 0, 13
	v_or_b32_e32 v11, 0x1000, v2
	v_med3_i32 v4, v4, 0, 13
	s_delay_alu instid0(VALU_DEP_4) | instskip(NEXT) | instid1(VALU_DEP_3)
	v_or_b32_e32 v12, 0x1000, v6
	v_lshrrev_b32_e32 v13, v9, v11
	s_delay_alu instid0(VALU_DEP_2) | instskip(NEXT) | instid1(VALU_DEP_2)
	v_lshrrev_b32_e32 v14, v4, v12
	v_lshlrev_b32_e32 v9, v9, v13
	s_delay_alu instid0(VALU_DEP_2) | instskip(NEXT) | instid1(VALU_DEP_2)
	v_lshlrev_b32_e32 v4, v4, v14
	v_cmp_ne_u32_e32 vcc_lo, v9, v11
	v_lshl_or_b32 v11, v8, 12, v2
	s_wait_alu 0xfffd
	v_cndmask_b32_e64 v9, 0, 1, vcc_lo
	v_cmp_ne_u32_e32 vcc_lo, v4, v12
	v_lshl_or_b32 v12, v10, 12, v6
	s_delay_alu instid0(VALU_DEP_3) | instskip(SKIP_3) | instid1(VALU_DEP_2)
	v_or_b32_e32 v9, v13, v9
	s_wait_alu 0xfffd
	v_cndmask_b32_e64 v4, 0, 1, vcc_lo
	v_cmp_gt_i32_e32 vcc_lo, 1, v8
	v_or_b32_e32 v4, v14, v4
	s_wait_alu 0xfffd
	v_cndmask_b32_e32 v9, v11, v9, vcc_lo
	v_cmp_gt_i32_e32 vcc_lo, 1, v10
	s_wait_alu 0xfffd
	s_delay_alu instid0(VALU_DEP_2) | instskip(SKIP_2) | instid1(VALU_DEP_3)
	v_dual_cndmask_b32 v4, v12, v4 :: v_dual_and_b32 v11, 7, v9
	v_cmp_ne_u32_e32 vcc_lo, 0, v2
	v_lshrrev_b32_e32 v9, 2, v9
	v_cmp_eq_u32_e64 s0, 3, v11
	s_delay_alu instid0(VALU_DEP_4)
	v_and_b32_e32 v12, 7, v4
	s_wait_alu 0xfffd
	v_cndmask_b32_e64 v2, 0, 1, vcc_lo
	v_cmp_ne_u32_e32 vcc_lo, 0, v6
	v_lshrrev_b32_e32 v4, 2, v4
	v_cmp_lt_i32_e64 s1, 5, v12
	v_cmp_eq_u32_e64 s2, 3, v12
	s_wait_alu 0xfffd
	v_cndmask_b32_e64 v6, 0, 1, vcc_lo
	v_cmp_lt_i32_e32 vcc_lo, 5, v11
	v_lshl_or_b32 v2, v2, 9, 0x7c00
	s_delay_alu instid0(VALU_DEP_3)
	v_lshl_or_b32 v6, v6, 9, 0x7c00
	s_or_b32 vcc_lo, s0, vcc_lo
	s_wait_alu 0xfffe
	v_add_co_ci_u32_e32 v9, vcc_lo, 0, v9, vcc_lo
	s_or_b32 vcc_lo, s2, s1
	s_wait_alu 0xfffe
	v_add_co_ci_u32_e32 v4, vcc_lo, 0, v4, vcc_lo
	v_cmp_gt_i32_e32 vcc_lo, 31, v8
	s_wait_alu 0xfffd
	v_cndmask_b32_e32 v9, 0x7c00, v9, vcc_lo
	v_cmp_gt_i32_e32 vcc_lo, 31, v10
	s_wait_alu 0xfffd
	v_cndmask_b32_e32 v4, 0x7c00, v4, vcc_lo
	v_cmp_eq_u32_e32 vcc_lo, 0x40f, v8
	s_wait_alu 0xfffd
	v_cndmask_b32_e32 v2, v9, v2, vcc_lo
	v_cmp_eq_u32_e32 vcc_lo, 0x40f, v10
	s_delay_alu instid0(VALU_DEP_2)
	v_and_or_b32 v2, 0x8000, v5, v2
	s_wait_alu 0xfffd
	v_cndmask_b32_e32 v4, v4, v6, vcc_lo
	v_add_co_u32 v0, vcc_lo, v0, s4
	s_wait_alu 0xfffd
	v_add_co_ci_u32_e32 v1, vcc_lo, s5, v1, vcc_lo
	s_delay_alu instid0(VALU_DEP_3) | instskip(SKIP_1) | instid1(VALU_DEP_1)
	v_and_or_b32 v4, 0x8000, v7, v4
	v_and_b32_e32 v2, 0xffff, v2
	v_lshl_or_b32 v2, v4, 16, v2
	v_lshrrev_b32_e32 v4, 16, v3
	global_store_b32 v[0:1], v2, off
	global_load_b32 v2, v63, s[12:13] offset:4200
	s_wait_loadcnt 0x0
	v_lshrrev_b32_e32 v5, 16, v2
	s_delay_alu instid0(VALU_DEP_1) | instskip(SKIP_1) | instid1(VALU_DEP_2)
	v_mul_f16_e32 v6, v4, v5
	v_mul_f16_e32 v5, v3, v5
	v_fmac_f16_e32 v6, v3, v2
	s_delay_alu instid0(VALU_DEP_2) | instskip(NEXT) | instid1(VALU_DEP_2)
	v_fma_f16 v2, v2, v4, -v5
	v_cvt_f32_f16_e32 v3, v6
	s_delay_alu instid0(VALU_DEP_2) | instskip(NEXT) | instid1(VALU_DEP_2)
	v_cvt_f32_f16_e32 v4, v2
	v_cvt_f64_f32_e32 v[2:3], v3
	s_delay_alu instid0(VALU_DEP_2) | instskip(NEXT) | instid1(VALU_DEP_2)
	v_cvt_f64_f32_e32 v[4:5], v4
	v_mul_f64_e32 v[2:3], s[8:9], v[2:3]
	s_delay_alu instid0(VALU_DEP_2) | instskip(NEXT) | instid1(VALU_DEP_2)
	v_mul_f64_e32 v[4:5], s[8:9], v[4:5]
	v_and_or_b32 v2, 0x1ff, v3, v2
	s_delay_alu instid0(VALU_DEP_2)
	v_and_or_b32 v4, 0x1ff, v5, v4
	v_lshrrev_b32_e32 v6, 8, v3
	v_bfe_u32 v7, v3, 20, 11
	v_lshrrev_b32_e32 v8, 8, v5
	v_cmp_ne_u32_e32 vcc_lo, 0, v2
	v_bfe_u32 v9, v5, 20, 11
	v_lshrrev_b32_e32 v3, 16, v3
	v_sub_nc_u32_e32 v10, 0x3f1, v7
	v_add_nc_u32_e32 v7, 0xfffffc10, v7
	s_wait_alu 0xfffd
	v_cndmask_b32_e64 v2, 0, 1, vcc_lo
	v_cmp_ne_u32_e32 vcc_lo, 0, v4
	v_lshrrev_b32_e32 v5, 16, v5
	s_delay_alu instid0(VALU_DEP_3) | instskip(SKIP_4) | instid1(VALU_DEP_3)
	v_and_or_b32 v2, 0xffe, v6, v2
	s_wait_alu 0xfffd
	v_cndmask_b32_e64 v4, 0, 1, vcc_lo
	v_sub_nc_u32_e32 v6, 0x3f1, v9
	v_add_nc_u32_e32 v9, 0xfffffc10, v9
	v_and_or_b32 v4, 0xffe, v8, v4
	v_med3_i32 v8, v10, 0, 13
	v_or_b32_e32 v10, 0x1000, v2
	v_med3_i32 v6, v6, 0, 13
	s_delay_alu instid0(VALU_DEP_4) | instskip(NEXT) | instid1(VALU_DEP_3)
	v_or_b32_e32 v11, 0x1000, v4
	v_lshrrev_b32_e32 v12, v8, v10
	s_delay_alu instid0(VALU_DEP_2) | instskip(NEXT) | instid1(VALU_DEP_2)
	v_lshrrev_b32_e32 v13, v6, v11
	v_lshlrev_b32_e32 v8, v8, v12
	s_delay_alu instid0(VALU_DEP_2) | instskip(NEXT) | instid1(VALU_DEP_2)
	v_lshlrev_b32_e32 v6, v6, v13
	v_cmp_ne_u32_e32 vcc_lo, v8, v10
	v_lshl_or_b32 v10, v7, 12, v2
	s_wait_alu 0xfffd
	v_cndmask_b32_e64 v8, 0, 1, vcc_lo
	v_cmp_ne_u32_e32 vcc_lo, v6, v11
	v_lshl_or_b32 v11, v9, 12, v4
	s_delay_alu instid0(VALU_DEP_3) | instskip(SKIP_3) | instid1(VALU_DEP_2)
	v_or_b32_e32 v8, v12, v8
	s_wait_alu 0xfffd
	v_cndmask_b32_e64 v6, 0, 1, vcc_lo
	v_cmp_gt_i32_e32 vcc_lo, 1, v7
	v_or_b32_e32 v6, v13, v6
	s_wait_alu 0xfffd
	v_cndmask_b32_e32 v8, v10, v8, vcc_lo
	v_cmp_gt_i32_e32 vcc_lo, 1, v9
	s_delay_alu instid0(VALU_DEP_2)
	v_and_b32_e32 v10, 7, v8
	s_wait_alu 0xfffd
	v_cndmask_b32_e32 v6, v11, v6, vcc_lo
	v_cmp_ne_u32_e32 vcc_lo, 0, v2
	v_lshrrev_b32_e32 v8, 2, v8
	v_cmp_eq_u32_e64 s0, 3, v10
	s_delay_alu instid0(VALU_DEP_4)
	v_and_b32_e32 v11, 7, v6
	s_wait_alu 0xfffd
	v_cndmask_b32_e64 v2, 0, 1, vcc_lo
	v_cmp_ne_u32_e32 vcc_lo, 0, v4
	v_lshrrev_b32_e32 v6, 2, v6
	v_cmp_lt_i32_e64 s1, 5, v11
	v_cmp_eq_u32_e64 s2, 3, v11
	s_wait_alu 0xfffd
	v_cndmask_b32_e64 v4, 0, 1, vcc_lo
	v_cmp_lt_i32_e32 vcc_lo, 5, v10
	v_lshl_or_b32 v2, v2, 9, 0x7c00
	s_delay_alu instid0(VALU_DEP_3)
	v_lshl_or_b32 v4, v4, 9, 0x7c00
	s_or_b32 vcc_lo, s0, vcc_lo
	s_wait_alu 0xfffe
	v_add_co_ci_u32_e32 v8, vcc_lo, 0, v8, vcc_lo
	s_or_b32 vcc_lo, s2, s1
	s_wait_alu 0xfffe
	v_add_co_ci_u32_e32 v6, vcc_lo, 0, v6, vcc_lo
	v_cmp_gt_i32_e32 vcc_lo, 31, v7
	s_wait_alu 0xfffd
	v_cndmask_b32_e32 v8, 0x7c00, v8, vcc_lo
	v_cmp_gt_i32_e32 vcc_lo, 31, v9
	s_wait_alu 0xfffd
	v_cndmask_b32_e32 v6, 0x7c00, v6, vcc_lo
	v_cmp_eq_u32_e32 vcc_lo, 0x40f, v7
	s_wait_alu 0xfffd
	v_cndmask_b32_e32 v2, v8, v2, vcc_lo
	v_cmp_eq_u32_e32 vcc_lo, 0x40f, v9
	s_delay_alu instid0(VALU_DEP_2)
	v_and_or_b32 v2, 0x8000, v3, v2
	s_wait_alu 0xfffd
	v_cndmask_b32_e32 v4, v6, v4, vcc_lo
	v_add_co_u32 v0, vcc_lo, v0, s4
	s_wait_alu 0xfffd
	v_add_co_ci_u32_e32 v1, vcc_lo, s5, v1, vcc_lo
	s_delay_alu instid0(VALU_DEP_3) | instskip(SKIP_1) | instid1(VALU_DEP_1)
	v_and_or_b32 v3, 0x8000, v5, v4
	v_and_b32_e32 v2, 0xffff, v2
	v_lshl_or_b32 v2, v3, 16, v2
	global_store_b32 v[0:1], v2, off
	global_load_b32 v4, v63, s[12:13] offset:4620
	v_add_nc_u32_e32 v2, 0x1000, v63
	ds_load_2addr_b32 v[2:3], v2 offset0:131 offset1:236
	s_wait_dscnt 0x0
	v_lshrrev_b32_e32 v5, 16, v2
	s_wait_loadcnt 0x0
	v_lshrrev_b32_e32 v6, 16, v4
	s_delay_alu instid0(VALU_DEP_1) | instskip(SKIP_1) | instid1(VALU_DEP_2)
	v_mul_f16_e32 v7, v5, v6
	v_mul_f16_e32 v6, v2, v6
	v_fmac_f16_e32 v7, v2, v4
	s_delay_alu instid0(VALU_DEP_2) | instskip(NEXT) | instid1(VALU_DEP_2)
	v_fma_f16 v2, v4, v5, -v6
	v_cvt_f32_f16_e32 v4, v7
	s_delay_alu instid0(VALU_DEP_2) | instskip(NEXT) | instid1(VALU_DEP_2)
	v_cvt_f32_f16_e32 v2, v2
	v_cvt_f64_f32_e32 v[4:5], v4
	s_delay_alu instid0(VALU_DEP_2) | instskip(NEXT) | instid1(VALU_DEP_2)
	v_cvt_f64_f32_e32 v[6:7], v2
	v_mul_f64_e32 v[4:5], s[8:9], v[4:5]
	s_delay_alu instid0(VALU_DEP_2) | instskip(NEXT) | instid1(VALU_DEP_2)
	v_mul_f64_e32 v[6:7], s[8:9], v[6:7]
	v_and_or_b32 v2, 0x1ff, v5, v4
	s_delay_alu instid0(VALU_DEP_2)
	v_and_or_b32 v6, 0x1ff, v7, v6
	v_lshrrev_b32_e32 v4, 8, v5
	v_bfe_u32 v8, v5, 20, 11
	v_lshrrev_b32_e32 v9, 8, v7
	v_cmp_ne_u32_e32 vcc_lo, 0, v2
	v_bfe_u32 v10, v7, 20, 11
	v_lshrrev_b32_e32 v5, 16, v5
	v_sub_nc_u32_e32 v11, 0x3f1, v8
	v_add_nc_u32_e32 v8, 0xfffffc10, v8
	s_wait_alu 0xfffd
	v_cndmask_b32_e64 v2, 0, 1, vcc_lo
	v_cmp_ne_u32_e32 vcc_lo, 0, v6
	v_lshrrev_b32_e32 v7, 16, v7
	s_delay_alu instid0(VALU_DEP_3) | instskip(SKIP_4) | instid1(VALU_DEP_3)
	v_and_or_b32 v2, 0xffe, v4, v2
	s_wait_alu 0xfffd
	v_cndmask_b32_e64 v6, 0, 1, vcc_lo
	v_sub_nc_u32_e32 v4, 0x3f1, v10
	v_add_nc_u32_e32 v10, 0xfffffc10, v10
	v_and_or_b32 v6, 0xffe, v9, v6
	v_med3_i32 v9, v11, 0, 13
	v_or_b32_e32 v11, 0x1000, v2
	v_med3_i32 v4, v4, 0, 13
	s_delay_alu instid0(VALU_DEP_4) | instskip(NEXT) | instid1(VALU_DEP_3)
	v_or_b32_e32 v12, 0x1000, v6
	v_lshrrev_b32_e32 v13, v9, v11
	s_delay_alu instid0(VALU_DEP_2) | instskip(NEXT) | instid1(VALU_DEP_2)
	v_lshrrev_b32_e32 v14, v4, v12
	v_lshlrev_b32_e32 v9, v9, v13
	s_delay_alu instid0(VALU_DEP_2) | instskip(NEXT) | instid1(VALU_DEP_2)
	v_lshlrev_b32_e32 v4, v4, v14
	v_cmp_ne_u32_e32 vcc_lo, v9, v11
	v_lshl_or_b32 v11, v8, 12, v2
	s_wait_alu 0xfffd
	v_cndmask_b32_e64 v9, 0, 1, vcc_lo
	v_cmp_ne_u32_e32 vcc_lo, v4, v12
	v_lshl_or_b32 v12, v10, 12, v6
	s_delay_alu instid0(VALU_DEP_3) | instskip(SKIP_3) | instid1(VALU_DEP_2)
	v_or_b32_e32 v9, v13, v9
	s_wait_alu 0xfffd
	v_cndmask_b32_e64 v4, 0, 1, vcc_lo
	v_cmp_gt_i32_e32 vcc_lo, 1, v8
	v_or_b32_e32 v4, v14, v4
	s_wait_alu 0xfffd
	v_cndmask_b32_e32 v9, v11, v9, vcc_lo
	v_cmp_gt_i32_e32 vcc_lo, 1, v10
	s_wait_alu 0xfffd
	s_delay_alu instid0(VALU_DEP_2) | instskip(SKIP_2) | instid1(VALU_DEP_3)
	v_dual_cndmask_b32 v4, v12, v4 :: v_dual_and_b32 v11, 7, v9
	v_cmp_ne_u32_e32 vcc_lo, 0, v2
	v_lshrrev_b32_e32 v9, 2, v9
	v_cmp_eq_u32_e64 s0, 3, v11
	s_delay_alu instid0(VALU_DEP_4)
	v_and_b32_e32 v12, 7, v4
	s_wait_alu 0xfffd
	v_cndmask_b32_e64 v2, 0, 1, vcc_lo
	v_cmp_ne_u32_e32 vcc_lo, 0, v6
	v_lshrrev_b32_e32 v4, 2, v4
	v_cmp_lt_i32_e64 s1, 5, v12
	v_cmp_eq_u32_e64 s2, 3, v12
	s_wait_alu 0xfffd
	v_cndmask_b32_e64 v6, 0, 1, vcc_lo
	v_cmp_lt_i32_e32 vcc_lo, 5, v11
	v_lshl_or_b32 v2, v2, 9, 0x7c00
	s_delay_alu instid0(VALU_DEP_3)
	v_lshl_or_b32 v6, v6, 9, 0x7c00
	s_or_b32 vcc_lo, s0, vcc_lo
	s_wait_alu 0xfffe
	v_add_co_ci_u32_e32 v9, vcc_lo, 0, v9, vcc_lo
	s_or_b32 vcc_lo, s2, s1
	s_wait_alu 0xfffe
	v_add_co_ci_u32_e32 v4, vcc_lo, 0, v4, vcc_lo
	v_cmp_gt_i32_e32 vcc_lo, 31, v8
	s_wait_alu 0xfffd
	v_cndmask_b32_e32 v9, 0x7c00, v9, vcc_lo
	v_cmp_gt_i32_e32 vcc_lo, 31, v10
	s_wait_alu 0xfffd
	v_cndmask_b32_e32 v4, 0x7c00, v4, vcc_lo
	v_cmp_eq_u32_e32 vcc_lo, 0x40f, v8
	s_wait_alu 0xfffd
	v_cndmask_b32_e32 v2, v9, v2, vcc_lo
	v_cmp_eq_u32_e32 vcc_lo, 0x40f, v10
	s_delay_alu instid0(VALU_DEP_2)
	v_and_or_b32 v2, 0x8000, v5, v2
	s_wait_alu 0xfffd
	v_cndmask_b32_e32 v4, v4, v6, vcc_lo
	v_add_co_u32 v0, vcc_lo, v0, s4
	s_wait_alu 0xfffd
	v_add_co_ci_u32_e32 v1, vcc_lo, s5, v1, vcc_lo
	s_delay_alu instid0(VALU_DEP_3) | instskip(SKIP_1) | instid1(VALU_DEP_1)
	v_and_or_b32 v4, 0x8000, v7, v4
	v_and_b32_e32 v2, 0xffff, v2
	v_lshl_or_b32 v2, v4, 16, v2
	v_lshrrev_b32_e32 v4, 16, v3
	global_store_b32 v[0:1], v2, off
	global_load_b32 v2, v63, s[12:13] offset:5040
	s_wait_loadcnt 0x0
	v_lshrrev_b32_e32 v5, 16, v2
	s_delay_alu instid0(VALU_DEP_1) | instskip(SKIP_1) | instid1(VALU_DEP_2)
	v_mul_f16_e32 v6, v4, v5
	v_mul_f16_e32 v5, v3, v5
	v_fmac_f16_e32 v6, v3, v2
	s_delay_alu instid0(VALU_DEP_2) | instskip(NEXT) | instid1(VALU_DEP_2)
	v_fma_f16 v2, v2, v4, -v5
	v_cvt_f32_f16_e32 v3, v6
	s_delay_alu instid0(VALU_DEP_2) | instskip(NEXT) | instid1(VALU_DEP_2)
	v_cvt_f32_f16_e32 v4, v2
	v_cvt_f64_f32_e32 v[2:3], v3
	s_delay_alu instid0(VALU_DEP_2) | instskip(NEXT) | instid1(VALU_DEP_2)
	v_cvt_f64_f32_e32 v[4:5], v4
	v_mul_f64_e32 v[2:3], s[8:9], v[2:3]
	s_delay_alu instid0(VALU_DEP_2) | instskip(NEXT) | instid1(VALU_DEP_2)
	v_mul_f64_e32 v[4:5], s[8:9], v[4:5]
	v_and_or_b32 v2, 0x1ff, v3, v2
	s_delay_alu instid0(VALU_DEP_2)
	v_and_or_b32 v4, 0x1ff, v5, v4
	v_lshrrev_b32_e32 v6, 8, v3
	v_bfe_u32 v7, v3, 20, 11
	v_lshrrev_b32_e32 v8, 8, v5
	v_cmp_ne_u32_e32 vcc_lo, 0, v2
	v_bfe_u32 v9, v5, 20, 11
	v_lshrrev_b32_e32 v3, 16, v3
	v_sub_nc_u32_e32 v10, 0x3f1, v7
	v_add_nc_u32_e32 v7, 0xfffffc10, v7
	s_wait_alu 0xfffd
	v_cndmask_b32_e64 v2, 0, 1, vcc_lo
	v_cmp_ne_u32_e32 vcc_lo, 0, v4
	v_lshrrev_b32_e32 v5, 16, v5
	s_delay_alu instid0(VALU_DEP_3) | instskip(SKIP_4) | instid1(VALU_DEP_3)
	v_and_or_b32 v2, 0xffe, v6, v2
	s_wait_alu 0xfffd
	v_cndmask_b32_e64 v4, 0, 1, vcc_lo
	v_sub_nc_u32_e32 v6, 0x3f1, v9
	v_add_nc_u32_e32 v9, 0xfffffc10, v9
	v_and_or_b32 v4, 0xffe, v8, v4
	v_med3_i32 v8, v10, 0, 13
	v_or_b32_e32 v10, 0x1000, v2
	v_med3_i32 v6, v6, 0, 13
	s_delay_alu instid0(VALU_DEP_4) | instskip(NEXT) | instid1(VALU_DEP_3)
	v_or_b32_e32 v11, 0x1000, v4
	v_lshrrev_b32_e32 v12, v8, v10
	s_delay_alu instid0(VALU_DEP_2) | instskip(NEXT) | instid1(VALU_DEP_2)
	v_lshrrev_b32_e32 v13, v6, v11
	v_lshlrev_b32_e32 v8, v8, v12
	s_delay_alu instid0(VALU_DEP_2) | instskip(NEXT) | instid1(VALU_DEP_2)
	v_lshlrev_b32_e32 v6, v6, v13
	v_cmp_ne_u32_e32 vcc_lo, v8, v10
	v_lshl_or_b32 v10, v7, 12, v2
	s_wait_alu 0xfffd
	v_cndmask_b32_e64 v8, 0, 1, vcc_lo
	v_cmp_ne_u32_e32 vcc_lo, v6, v11
	v_lshl_or_b32 v11, v9, 12, v4
	s_delay_alu instid0(VALU_DEP_3) | instskip(SKIP_3) | instid1(VALU_DEP_2)
	v_or_b32_e32 v8, v12, v8
	s_wait_alu 0xfffd
	v_cndmask_b32_e64 v6, 0, 1, vcc_lo
	v_cmp_gt_i32_e32 vcc_lo, 1, v7
	v_or_b32_e32 v6, v13, v6
	s_wait_alu 0xfffd
	v_cndmask_b32_e32 v8, v10, v8, vcc_lo
	v_cmp_gt_i32_e32 vcc_lo, 1, v9
	s_delay_alu instid0(VALU_DEP_2)
	v_and_b32_e32 v10, 7, v8
	s_wait_alu 0xfffd
	v_cndmask_b32_e32 v6, v11, v6, vcc_lo
	v_cmp_ne_u32_e32 vcc_lo, 0, v2
	v_lshrrev_b32_e32 v8, 2, v8
	v_cmp_eq_u32_e64 s0, 3, v10
	s_delay_alu instid0(VALU_DEP_4)
	v_and_b32_e32 v11, 7, v6
	s_wait_alu 0xfffd
	v_cndmask_b32_e64 v2, 0, 1, vcc_lo
	v_cmp_ne_u32_e32 vcc_lo, 0, v4
	v_lshrrev_b32_e32 v6, 2, v6
	v_cmp_lt_i32_e64 s1, 5, v11
	v_cmp_eq_u32_e64 s2, 3, v11
	s_wait_alu 0xfffd
	v_cndmask_b32_e64 v4, 0, 1, vcc_lo
	v_cmp_lt_i32_e32 vcc_lo, 5, v10
	v_lshl_or_b32 v2, v2, 9, 0x7c00
	s_delay_alu instid0(VALU_DEP_3)
	v_lshl_or_b32 v4, v4, 9, 0x7c00
	s_or_b32 vcc_lo, s0, vcc_lo
	s_wait_alu 0xfffe
	v_add_co_ci_u32_e32 v8, vcc_lo, 0, v8, vcc_lo
	s_or_b32 vcc_lo, s2, s1
	s_wait_alu 0xfffe
	v_add_co_ci_u32_e32 v6, vcc_lo, 0, v6, vcc_lo
	v_cmp_gt_i32_e32 vcc_lo, 31, v7
	s_wait_alu 0xfffd
	v_cndmask_b32_e32 v8, 0x7c00, v8, vcc_lo
	v_cmp_gt_i32_e32 vcc_lo, 31, v9
	s_wait_alu 0xfffd
	v_cndmask_b32_e32 v6, 0x7c00, v6, vcc_lo
	v_cmp_eq_u32_e32 vcc_lo, 0x40f, v7
	s_wait_alu 0xfffd
	v_cndmask_b32_e32 v2, v8, v2, vcc_lo
	v_cmp_eq_u32_e32 vcc_lo, 0x40f, v9
	s_delay_alu instid0(VALU_DEP_2)
	v_and_or_b32 v2, 0x8000, v3, v2
	s_wait_alu 0xfffd
	v_cndmask_b32_e32 v4, v6, v4, vcc_lo
	v_add_co_u32 v0, vcc_lo, v0, s4
	s_wait_alu 0xfffd
	v_add_co_ci_u32_e32 v1, vcc_lo, s5, v1, vcc_lo
	s_delay_alu instid0(VALU_DEP_3) | instskip(SKIP_1) | instid1(VALU_DEP_1)
	v_and_or_b32 v3, 0x8000, v5, v4
	v_and_b32_e32 v2, 0xffff, v2
	v_lshl_or_b32 v2, v3, 16, v2
	global_store_b32 v[0:1], v2, off
	global_load_b32 v4, v63, s[12:13] offset:5460
	v_add_nc_u32_e32 v2, 0x1400, v63
	ds_load_2addr_b32 v[2:3], v2 offset0:85 offset1:190
	s_wait_dscnt 0x0
	v_lshrrev_b32_e32 v5, 16, v2
	s_wait_loadcnt 0x0
	v_lshrrev_b32_e32 v6, 16, v4
	s_delay_alu instid0(VALU_DEP_1) | instskip(SKIP_1) | instid1(VALU_DEP_2)
	v_mul_f16_e32 v7, v5, v6
	v_mul_f16_e32 v6, v2, v6
	v_fmac_f16_e32 v7, v2, v4
	s_delay_alu instid0(VALU_DEP_2) | instskip(NEXT) | instid1(VALU_DEP_2)
	v_fma_f16 v2, v4, v5, -v6
	v_cvt_f32_f16_e32 v4, v7
	s_delay_alu instid0(VALU_DEP_2) | instskip(NEXT) | instid1(VALU_DEP_2)
	v_cvt_f32_f16_e32 v2, v2
	v_cvt_f64_f32_e32 v[4:5], v4
	s_delay_alu instid0(VALU_DEP_2) | instskip(NEXT) | instid1(VALU_DEP_2)
	v_cvt_f64_f32_e32 v[6:7], v2
	v_mul_f64_e32 v[4:5], s[8:9], v[4:5]
	s_delay_alu instid0(VALU_DEP_2) | instskip(NEXT) | instid1(VALU_DEP_2)
	v_mul_f64_e32 v[6:7], s[8:9], v[6:7]
	v_and_or_b32 v2, 0x1ff, v5, v4
	s_delay_alu instid0(VALU_DEP_2)
	v_and_or_b32 v6, 0x1ff, v7, v6
	v_lshrrev_b32_e32 v4, 8, v5
	v_bfe_u32 v8, v5, 20, 11
	v_lshrrev_b32_e32 v9, 8, v7
	v_cmp_ne_u32_e32 vcc_lo, 0, v2
	v_bfe_u32 v10, v7, 20, 11
	v_lshrrev_b32_e32 v5, 16, v5
	v_sub_nc_u32_e32 v11, 0x3f1, v8
	v_add_nc_u32_e32 v8, 0xfffffc10, v8
	s_wait_alu 0xfffd
	v_cndmask_b32_e64 v2, 0, 1, vcc_lo
	v_cmp_ne_u32_e32 vcc_lo, 0, v6
	v_lshrrev_b32_e32 v7, 16, v7
	s_delay_alu instid0(VALU_DEP_3) | instskip(SKIP_4) | instid1(VALU_DEP_3)
	v_and_or_b32 v2, 0xffe, v4, v2
	s_wait_alu 0xfffd
	v_cndmask_b32_e64 v6, 0, 1, vcc_lo
	v_sub_nc_u32_e32 v4, 0x3f1, v10
	v_add_nc_u32_e32 v10, 0xfffffc10, v10
	v_and_or_b32 v6, 0xffe, v9, v6
	v_med3_i32 v9, v11, 0, 13
	v_or_b32_e32 v11, 0x1000, v2
	v_med3_i32 v4, v4, 0, 13
	s_delay_alu instid0(VALU_DEP_4) | instskip(NEXT) | instid1(VALU_DEP_3)
	v_or_b32_e32 v12, 0x1000, v6
	v_lshrrev_b32_e32 v13, v9, v11
	s_delay_alu instid0(VALU_DEP_2) | instskip(NEXT) | instid1(VALU_DEP_2)
	v_lshrrev_b32_e32 v14, v4, v12
	v_lshlrev_b32_e32 v9, v9, v13
	s_delay_alu instid0(VALU_DEP_2) | instskip(NEXT) | instid1(VALU_DEP_2)
	v_lshlrev_b32_e32 v4, v4, v14
	v_cmp_ne_u32_e32 vcc_lo, v9, v11
	v_lshl_or_b32 v11, v8, 12, v2
	s_wait_alu 0xfffd
	v_cndmask_b32_e64 v9, 0, 1, vcc_lo
	v_cmp_ne_u32_e32 vcc_lo, v4, v12
	v_lshl_or_b32 v12, v10, 12, v6
	s_delay_alu instid0(VALU_DEP_3) | instskip(SKIP_3) | instid1(VALU_DEP_2)
	v_or_b32_e32 v9, v13, v9
	s_wait_alu 0xfffd
	v_cndmask_b32_e64 v4, 0, 1, vcc_lo
	v_cmp_gt_i32_e32 vcc_lo, 1, v8
	v_or_b32_e32 v4, v14, v4
	s_wait_alu 0xfffd
	v_cndmask_b32_e32 v9, v11, v9, vcc_lo
	v_cmp_gt_i32_e32 vcc_lo, 1, v10
	s_wait_alu 0xfffd
	s_delay_alu instid0(VALU_DEP_2) | instskip(SKIP_2) | instid1(VALU_DEP_3)
	v_dual_cndmask_b32 v4, v12, v4 :: v_dual_and_b32 v11, 7, v9
	v_cmp_ne_u32_e32 vcc_lo, 0, v2
	v_lshrrev_b32_e32 v9, 2, v9
	v_cmp_eq_u32_e64 s0, 3, v11
	s_delay_alu instid0(VALU_DEP_4)
	v_and_b32_e32 v12, 7, v4
	s_wait_alu 0xfffd
	v_cndmask_b32_e64 v2, 0, 1, vcc_lo
	v_cmp_ne_u32_e32 vcc_lo, 0, v6
	v_lshrrev_b32_e32 v4, 2, v4
	v_cmp_lt_i32_e64 s1, 5, v12
	v_cmp_eq_u32_e64 s2, 3, v12
	s_wait_alu 0xfffd
	v_cndmask_b32_e64 v6, 0, 1, vcc_lo
	v_cmp_lt_i32_e32 vcc_lo, 5, v11
	v_lshl_or_b32 v2, v2, 9, 0x7c00
	s_delay_alu instid0(VALU_DEP_3)
	v_lshl_or_b32 v6, v6, 9, 0x7c00
	s_or_b32 vcc_lo, s0, vcc_lo
	s_wait_alu 0xfffe
	v_add_co_ci_u32_e32 v9, vcc_lo, 0, v9, vcc_lo
	s_or_b32 vcc_lo, s2, s1
	s_wait_alu 0xfffe
	v_add_co_ci_u32_e32 v4, vcc_lo, 0, v4, vcc_lo
	v_cmp_gt_i32_e32 vcc_lo, 31, v8
	s_wait_alu 0xfffd
	v_cndmask_b32_e32 v9, 0x7c00, v9, vcc_lo
	v_cmp_gt_i32_e32 vcc_lo, 31, v10
	s_wait_alu 0xfffd
	v_cndmask_b32_e32 v4, 0x7c00, v4, vcc_lo
	v_cmp_eq_u32_e32 vcc_lo, 0x40f, v8
	s_wait_alu 0xfffd
	v_cndmask_b32_e32 v2, v9, v2, vcc_lo
	v_cmp_eq_u32_e32 vcc_lo, 0x40f, v10
	s_delay_alu instid0(VALU_DEP_2)
	v_and_or_b32 v2, 0x8000, v5, v2
	s_wait_alu 0xfffd
	v_cndmask_b32_e32 v4, v4, v6, vcc_lo
	v_add_co_u32 v0, vcc_lo, v0, s4
	s_wait_alu 0xfffd
	v_add_co_ci_u32_e32 v1, vcc_lo, s5, v1, vcc_lo
	s_delay_alu instid0(VALU_DEP_3) | instskip(SKIP_1) | instid1(VALU_DEP_1)
	v_and_or_b32 v4, 0x8000, v7, v4
	v_and_b32_e32 v2, 0xffff, v2
	v_lshl_or_b32 v2, v4, 16, v2
	v_lshrrev_b32_e32 v4, 16, v3
	global_store_b32 v[0:1], v2, off
	global_load_b32 v2, v63, s[12:13] offset:5880
	s_wait_loadcnt 0x0
	v_lshrrev_b32_e32 v5, 16, v2
	s_delay_alu instid0(VALU_DEP_1) | instskip(SKIP_1) | instid1(VALU_DEP_2)
	v_mul_f16_e32 v6, v4, v5
	v_mul_f16_e32 v5, v3, v5
	v_fmac_f16_e32 v6, v3, v2
	s_delay_alu instid0(VALU_DEP_2) | instskip(NEXT) | instid1(VALU_DEP_2)
	v_fma_f16 v2, v2, v4, -v5
	v_cvt_f32_f16_e32 v3, v6
	s_delay_alu instid0(VALU_DEP_2) | instskip(NEXT) | instid1(VALU_DEP_2)
	v_cvt_f32_f16_e32 v4, v2
	v_cvt_f64_f32_e32 v[2:3], v3
	s_delay_alu instid0(VALU_DEP_2) | instskip(NEXT) | instid1(VALU_DEP_2)
	v_cvt_f64_f32_e32 v[4:5], v4
	v_mul_f64_e32 v[2:3], s[8:9], v[2:3]
	s_delay_alu instid0(VALU_DEP_2) | instskip(NEXT) | instid1(VALU_DEP_2)
	v_mul_f64_e32 v[4:5], s[8:9], v[4:5]
	v_and_or_b32 v2, 0x1ff, v3, v2
	s_delay_alu instid0(VALU_DEP_2)
	v_and_or_b32 v4, 0x1ff, v5, v4
	v_lshrrev_b32_e32 v6, 8, v3
	v_bfe_u32 v7, v3, 20, 11
	v_lshrrev_b32_e32 v8, 8, v5
	v_cmp_ne_u32_e32 vcc_lo, 0, v2
	v_bfe_u32 v9, v5, 20, 11
	v_lshrrev_b32_e32 v3, 16, v3
	v_sub_nc_u32_e32 v10, 0x3f1, v7
	v_add_nc_u32_e32 v7, 0xfffffc10, v7
	s_wait_alu 0xfffd
	v_cndmask_b32_e64 v2, 0, 1, vcc_lo
	v_cmp_ne_u32_e32 vcc_lo, 0, v4
	v_lshrrev_b32_e32 v5, 16, v5
	s_delay_alu instid0(VALU_DEP_3) | instskip(SKIP_4) | instid1(VALU_DEP_3)
	v_and_or_b32 v2, 0xffe, v6, v2
	s_wait_alu 0xfffd
	v_cndmask_b32_e64 v4, 0, 1, vcc_lo
	v_sub_nc_u32_e32 v6, 0x3f1, v9
	v_add_nc_u32_e32 v9, 0xfffffc10, v9
	v_and_or_b32 v4, 0xffe, v8, v4
	v_med3_i32 v8, v10, 0, 13
	v_or_b32_e32 v10, 0x1000, v2
	v_med3_i32 v6, v6, 0, 13
	s_delay_alu instid0(VALU_DEP_4) | instskip(NEXT) | instid1(VALU_DEP_3)
	v_or_b32_e32 v11, 0x1000, v4
	v_lshrrev_b32_e32 v12, v8, v10
	s_delay_alu instid0(VALU_DEP_2) | instskip(NEXT) | instid1(VALU_DEP_2)
	v_lshrrev_b32_e32 v13, v6, v11
	v_lshlrev_b32_e32 v8, v8, v12
	s_delay_alu instid0(VALU_DEP_2) | instskip(NEXT) | instid1(VALU_DEP_2)
	v_lshlrev_b32_e32 v6, v6, v13
	v_cmp_ne_u32_e32 vcc_lo, v8, v10
	v_lshl_or_b32 v10, v7, 12, v2
	s_wait_alu 0xfffd
	v_cndmask_b32_e64 v8, 0, 1, vcc_lo
	v_cmp_ne_u32_e32 vcc_lo, v6, v11
	v_lshl_or_b32 v11, v9, 12, v4
	s_delay_alu instid0(VALU_DEP_3) | instskip(SKIP_3) | instid1(VALU_DEP_2)
	v_or_b32_e32 v8, v12, v8
	s_wait_alu 0xfffd
	v_cndmask_b32_e64 v6, 0, 1, vcc_lo
	v_cmp_gt_i32_e32 vcc_lo, 1, v7
	v_or_b32_e32 v6, v13, v6
	s_wait_alu 0xfffd
	v_cndmask_b32_e32 v8, v10, v8, vcc_lo
	v_cmp_gt_i32_e32 vcc_lo, 1, v9
	s_delay_alu instid0(VALU_DEP_2)
	v_and_b32_e32 v10, 7, v8
	s_wait_alu 0xfffd
	v_cndmask_b32_e32 v6, v11, v6, vcc_lo
	v_cmp_ne_u32_e32 vcc_lo, 0, v2
	v_lshrrev_b32_e32 v8, 2, v8
	v_cmp_eq_u32_e64 s0, 3, v10
	s_delay_alu instid0(VALU_DEP_4)
	v_and_b32_e32 v11, 7, v6
	s_wait_alu 0xfffd
	v_cndmask_b32_e64 v2, 0, 1, vcc_lo
	v_cmp_ne_u32_e32 vcc_lo, 0, v4
	v_lshrrev_b32_e32 v6, 2, v6
	v_cmp_lt_i32_e64 s1, 5, v11
	v_cmp_eq_u32_e64 s2, 3, v11
	s_wait_alu 0xfffd
	v_cndmask_b32_e64 v4, 0, 1, vcc_lo
	v_cmp_lt_i32_e32 vcc_lo, 5, v10
	v_lshl_or_b32 v2, v2, 9, 0x7c00
	s_delay_alu instid0(VALU_DEP_3)
	v_lshl_or_b32 v4, v4, 9, 0x7c00
	s_or_b32 vcc_lo, s0, vcc_lo
	s_wait_alu 0xfffe
	v_add_co_ci_u32_e32 v8, vcc_lo, 0, v8, vcc_lo
	s_or_b32 vcc_lo, s2, s1
	s_wait_alu 0xfffe
	v_add_co_ci_u32_e32 v6, vcc_lo, 0, v6, vcc_lo
	v_cmp_gt_i32_e32 vcc_lo, 31, v7
	s_wait_alu 0xfffd
	v_cndmask_b32_e32 v8, 0x7c00, v8, vcc_lo
	v_cmp_gt_i32_e32 vcc_lo, 31, v9
	s_wait_alu 0xfffd
	v_cndmask_b32_e32 v6, 0x7c00, v6, vcc_lo
	v_cmp_eq_u32_e32 vcc_lo, 0x40f, v7
	s_wait_alu 0xfffd
	v_cndmask_b32_e32 v2, v8, v2, vcc_lo
	v_cmp_eq_u32_e32 vcc_lo, 0x40f, v9
	s_delay_alu instid0(VALU_DEP_2)
	v_and_or_b32 v2, 0x8000, v3, v2
	s_wait_alu 0xfffd
	v_cndmask_b32_e32 v4, v6, v4, vcc_lo
	v_add_co_u32 v0, vcc_lo, v0, s4
	s_wait_alu 0xfffd
	v_add_co_ci_u32_e32 v1, vcc_lo, s5, v1, vcc_lo
	s_delay_alu instid0(VALU_DEP_3) | instskip(SKIP_1) | instid1(VALU_DEP_1)
	v_and_or_b32 v3, 0x8000, v5, v4
	v_and_b32_e32 v2, 0xffff, v2
	v_lshl_or_b32 v2, v3, 16, v2
	global_store_b32 v[0:1], v2, off
	global_load_b32 v4, v63, s[12:13] offset:6300
	v_add_nc_u32_e32 v2, 0x1800, v63
	ds_load_2addr_b32 v[2:3], v2 offset0:39 offset1:144
	s_wait_dscnt 0x0
	v_lshrrev_b32_e32 v5, 16, v2
	s_wait_loadcnt 0x0
	v_lshrrev_b32_e32 v6, 16, v4
	s_delay_alu instid0(VALU_DEP_1) | instskip(SKIP_1) | instid1(VALU_DEP_2)
	v_mul_f16_e32 v7, v5, v6
	v_mul_f16_e32 v6, v2, v6
	v_fmac_f16_e32 v7, v2, v4
	s_delay_alu instid0(VALU_DEP_2) | instskip(NEXT) | instid1(VALU_DEP_2)
	v_fma_f16 v2, v4, v5, -v6
	v_cvt_f32_f16_e32 v4, v7
	s_delay_alu instid0(VALU_DEP_2) | instskip(NEXT) | instid1(VALU_DEP_2)
	v_cvt_f32_f16_e32 v2, v2
	v_cvt_f64_f32_e32 v[4:5], v4
	s_delay_alu instid0(VALU_DEP_2) | instskip(NEXT) | instid1(VALU_DEP_2)
	v_cvt_f64_f32_e32 v[6:7], v2
	v_mul_f64_e32 v[4:5], s[8:9], v[4:5]
	s_delay_alu instid0(VALU_DEP_2) | instskip(NEXT) | instid1(VALU_DEP_2)
	v_mul_f64_e32 v[6:7], s[8:9], v[6:7]
	v_and_or_b32 v2, 0x1ff, v5, v4
	s_delay_alu instid0(VALU_DEP_2)
	v_and_or_b32 v6, 0x1ff, v7, v6
	v_lshrrev_b32_e32 v4, 8, v5
	v_bfe_u32 v8, v5, 20, 11
	v_lshrrev_b32_e32 v9, 8, v7
	v_cmp_ne_u32_e32 vcc_lo, 0, v2
	v_bfe_u32 v10, v7, 20, 11
	v_lshrrev_b32_e32 v5, 16, v5
	v_sub_nc_u32_e32 v11, 0x3f1, v8
	v_add_nc_u32_e32 v8, 0xfffffc10, v8
	s_wait_alu 0xfffd
	v_cndmask_b32_e64 v2, 0, 1, vcc_lo
	v_cmp_ne_u32_e32 vcc_lo, 0, v6
	v_lshrrev_b32_e32 v7, 16, v7
	s_delay_alu instid0(VALU_DEP_3) | instskip(SKIP_4) | instid1(VALU_DEP_3)
	v_and_or_b32 v2, 0xffe, v4, v2
	s_wait_alu 0xfffd
	v_cndmask_b32_e64 v6, 0, 1, vcc_lo
	v_sub_nc_u32_e32 v4, 0x3f1, v10
	v_add_nc_u32_e32 v10, 0xfffffc10, v10
	v_and_or_b32 v6, 0xffe, v9, v6
	v_med3_i32 v9, v11, 0, 13
	v_or_b32_e32 v11, 0x1000, v2
	v_med3_i32 v4, v4, 0, 13
	s_delay_alu instid0(VALU_DEP_4) | instskip(NEXT) | instid1(VALU_DEP_3)
	v_or_b32_e32 v12, 0x1000, v6
	v_lshrrev_b32_e32 v13, v9, v11
	s_delay_alu instid0(VALU_DEP_2) | instskip(NEXT) | instid1(VALU_DEP_2)
	v_lshrrev_b32_e32 v14, v4, v12
	v_lshlrev_b32_e32 v9, v9, v13
	s_delay_alu instid0(VALU_DEP_2) | instskip(NEXT) | instid1(VALU_DEP_2)
	v_lshlrev_b32_e32 v4, v4, v14
	v_cmp_ne_u32_e32 vcc_lo, v9, v11
	v_lshl_or_b32 v11, v8, 12, v2
	s_wait_alu 0xfffd
	v_cndmask_b32_e64 v9, 0, 1, vcc_lo
	v_cmp_ne_u32_e32 vcc_lo, v4, v12
	v_lshl_or_b32 v12, v10, 12, v6
	s_delay_alu instid0(VALU_DEP_3) | instskip(SKIP_3) | instid1(VALU_DEP_2)
	v_or_b32_e32 v9, v13, v9
	s_wait_alu 0xfffd
	v_cndmask_b32_e64 v4, 0, 1, vcc_lo
	v_cmp_gt_i32_e32 vcc_lo, 1, v8
	v_or_b32_e32 v4, v14, v4
	s_wait_alu 0xfffd
	v_cndmask_b32_e32 v9, v11, v9, vcc_lo
	v_cmp_gt_i32_e32 vcc_lo, 1, v10
	s_wait_alu 0xfffd
	s_delay_alu instid0(VALU_DEP_2) | instskip(SKIP_2) | instid1(VALU_DEP_3)
	v_dual_cndmask_b32 v4, v12, v4 :: v_dual_and_b32 v11, 7, v9
	v_cmp_ne_u32_e32 vcc_lo, 0, v2
	v_lshrrev_b32_e32 v9, 2, v9
	v_cmp_eq_u32_e64 s0, 3, v11
	s_delay_alu instid0(VALU_DEP_4)
	v_and_b32_e32 v12, 7, v4
	s_wait_alu 0xfffd
	v_cndmask_b32_e64 v2, 0, 1, vcc_lo
	v_cmp_ne_u32_e32 vcc_lo, 0, v6
	v_lshrrev_b32_e32 v4, 2, v4
	v_cmp_lt_i32_e64 s1, 5, v12
	v_cmp_eq_u32_e64 s2, 3, v12
	s_wait_alu 0xfffd
	v_cndmask_b32_e64 v6, 0, 1, vcc_lo
	v_cmp_lt_i32_e32 vcc_lo, 5, v11
	v_lshl_or_b32 v2, v2, 9, 0x7c00
	s_delay_alu instid0(VALU_DEP_3)
	v_lshl_or_b32 v6, v6, 9, 0x7c00
	s_or_b32 vcc_lo, s0, vcc_lo
	s_wait_alu 0xfffe
	v_add_co_ci_u32_e32 v9, vcc_lo, 0, v9, vcc_lo
	s_or_b32 vcc_lo, s2, s1
	s_wait_alu 0xfffe
	v_add_co_ci_u32_e32 v4, vcc_lo, 0, v4, vcc_lo
	v_cmp_gt_i32_e32 vcc_lo, 31, v8
	s_wait_alu 0xfffd
	v_cndmask_b32_e32 v9, 0x7c00, v9, vcc_lo
	v_cmp_gt_i32_e32 vcc_lo, 31, v10
	s_wait_alu 0xfffd
	v_cndmask_b32_e32 v4, 0x7c00, v4, vcc_lo
	v_cmp_eq_u32_e32 vcc_lo, 0x40f, v8
	s_wait_alu 0xfffd
	v_cndmask_b32_e32 v2, v9, v2, vcc_lo
	v_cmp_eq_u32_e32 vcc_lo, 0x40f, v10
	s_delay_alu instid0(VALU_DEP_2)
	v_and_or_b32 v2, 0x8000, v5, v2
	s_wait_alu 0xfffd
	v_cndmask_b32_e32 v4, v4, v6, vcc_lo
	v_add_co_u32 v0, vcc_lo, v0, s4
	s_wait_alu 0xfffd
	v_add_co_ci_u32_e32 v1, vcc_lo, s5, v1, vcc_lo
	s_delay_alu instid0(VALU_DEP_3) | instskip(SKIP_1) | instid1(VALU_DEP_1)
	v_and_or_b32 v4, 0x8000, v7, v4
	v_and_b32_e32 v2, 0xffff, v2
	v_lshl_or_b32 v2, v4, 16, v2
	v_lshrrev_b32_e32 v4, 16, v3
	global_store_b32 v[0:1], v2, off
	global_load_b32 v2, v63, s[12:13] offset:6720
	s_wait_loadcnt 0x0
	v_lshrrev_b32_e32 v5, 16, v2
	s_delay_alu instid0(VALU_DEP_1) | instskip(SKIP_1) | instid1(VALU_DEP_2)
	v_mul_f16_e32 v6, v4, v5
	v_mul_f16_e32 v5, v3, v5
	v_fmac_f16_e32 v6, v3, v2
	s_delay_alu instid0(VALU_DEP_2) | instskip(NEXT) | instid1(VALU_DEP_2)
	v_fma_f16 v2, v2, v4, -v5
	v_cvt_f32_f16_e32 v3, v6
	s_delay_alu instid0(VALU_DEP_2) | instskip(NEXT) | instid1(VALU_DEP_2)
	v_cvt_f32_f16_e32 v4, v2
	v_cvt_f64_f32_e32 v[2:3], v3
	s_delay_alu instid0(VALU_DEP_2) | instskip(NEXT) | instid1(VALU_DEP_2)
	v_cvt_f64_f32_e32 v[4:5], v4
	v_mul_f64_e32 v[2:3], s[8:9], v[2:3]
	s_delay_alu instid0(VALU_DEP_2) | instskip(NEXT) | instid1(VALU_DEP_2)
	v_mul_f64_e32 v[4:5], s[8:9], v[4:5]
	v_and_or_b32 v2, 0x1ff, v3, v2
	s_delay_alu instid0(VALU_DEP_2)
	v_and_or_b32 v4, 0x1ff, v5, v4
	v_lshrrev_b32_e32 v6, 8, v3
	v_bfe_u32 v7, v3, 20, 11
	v_lshrrev_b32_e32 v8, 8, v5
	v_cmp_ne_u32_e32 vcc_lo, 0, v2
	v_bfe_u32 v9, v5, 20, 11
	v_lshrrev_b32_e32 v3, 16, v3
	v_sub_nc_u32_e32 v10, 0x3f1, v7
	v_add_nc_u32_e32 v7, 0xfffffc10, v7
	s_wait_alu 0xfffd
	v_cndmask_b32_e64 v2, 0, 1, vcc_lo
	v_cmp_ne_u32_e32 vcc_lo, 0, v4
	v_lshrrev_b32_e32 v5, 16, v5
	s_delay_alu instid0(VALU_DEP_3) | instskip(SKIP_4) | instid1(VALU_DEP_3)
	v_and_or_b32 v2, 0xffe, v6, v2
	s_wait_alu 0xfffd
	v_cndmask_b32_e64 v4, 0, 1, vcc_lo
	v_sub_nc_u32_e32 v6, 0x3f1, v9
	v_add_nc_u32_e32 v9, 0xfffffc10, v9
	v_and_or_b32 v4, 0xffe, v8, v4
	v_med3_i32 v8, v10, 0, 13
	v_or_b32_e32 v10, 0x1000, v2
	v_med3_i32 v6, v6, 0, 13
	s_delay_alu instid0(VALU_DEP_4) | instskip(NEXT) | instid1(VALU_DEP_3)
	v_or_b32_e32 v11, 0x1000, v4
	v_lshrrev_b32_e32 v12, v8, v10
	s_delay_alu instid0(VALU_DEP_2) | instskip(NEXT) | instid1(VALU_DEP_2)
	v_lshrrev_b32_e32 v13, v6, v11
	v_lshlrev_b32_e32 v8, v8, v12
	s_delay_alu instid0(VALU_DEP_2) | instskip(NEXT) | instid1(VALU_DEP_2)
	v_lshlrev_b32_e32 v6, v6, v13
	v_cmp_ne_u32_e32 vcc_lo, v8, v10
	v_lshl_or_b32 v10, v7, 12, v2
	s_wait_alu 0xfffd
	v_cndmask_b32_e64 v8, 0, 1, vcc_lo
	v_cmp_ne_u32_e32 vcc_lo, v6, v11
	v_lshl_or_b32 v11, v9, 12, v4
	s_delay_alu instid0(VALU_DEP_3) | instskip(SKIP_3) | instid1(VALU_DEP_2)
	v_or_b32_e32 v8, v12, v8
	s_wait_alu 0xfffd
	v_cndmask_b32_e64 v6, 0, 1, vcc_lo
	v_cmp_gt_i32_e32 vcc_lo, 1, v7
	v_or_b32_e32 v6, v13, v6
	s_wait_alu 0xfffd
	v_cndmask_b32_e32 v8, v10, v8, vcc_lo
	v_cmp_gt_i32_e32 vcc_lo, 1, v9
	s_delay_alu instid0(VALU_DEP_2)
	v_and_b32_e32 v10, 7, v8
	s_wait_alu 0xfffd
	v_cndmask_b32_e32 v6, v11, v6, vcc_lo
	v_cmp_ne_u32_e32 vcc_lo, 0, v2
	v_lshrrev_b32_e32 v8, 2, v8
	v_cmp_eq_u32_e64 s0, 3, v10
	s_delay_alu instid0(VALU_DEP_4)
	v_and_b32_e32 v11, 7, v6
	s_wait_alu 0xfffd
	v_cndmask_b32_e64 v2, 0, 1, vcc_lo
	v_cmp_ne_u32_e32 vcc_lo, 0, v4
	v_lshrrev_b32_e32 v6, 2, v6
	v_cmp_lt_i32_e64 s1, 5, v11
	v_cmp_eq_u32_e64 s2, 3, v11
	s_wait_alu 0xfffd
	v_cndmask_b32_e64 v4, 0, 1, vcc_lo
	v_cmp_lt_i32_e32 vcc_lo, 5, v10
	v_lshl_or_b32 v2, v2, 9, 0x7c00
	s_delay_alu instid0(VALU_DEP_3)
	v_lshl_or_b32 v4, v4, 9, 0x7c00
	s_or_b32 vcc_lo, s0, vcc_lo
	s_wait_alu 0xfffe
	v_add_co_ci_u32_e32 v8, vcc_lo, 0, v8, vcc_lo
	s_or_b32 vcc_lo, s2, s1
	s_wait_alu 0xfffe
	v_add_co_ci_u32_e32 v6, vcc_lo, 0, v6, vcc_lo
	v_cmp_gt_i32_e32 vcc_lo, 31, v7
	s_wait_alu 0xfffd
	v_cndmask_b32_e32 v8, 0x7c00, v8, vcc_lo
	v_cmp_gt_i32_e32 vcc_lo, 31, v9
	s_wait_alu 0xfffd
	v_cndmask_b32_e32 v6, 0x7c00, v6, vcc_lo
	v_cmp_eq_u32_e32 vcc_lo, 0x40f, v7
	s_wait_alu 0xfffd
	v_cndmask_b32_e32 v2, v8, v2, vcc_lo
	v_cmp_eq_u32_e32 vcc_lo, 0x40f, v9
	s_delay_alu instid0(VALU_DEP_2)
	v_and_or_b32 v2, 0x8000, v3, v2
	s_wait_alu 0xfffd
	v_cndmask_b32_e32 v4, v6, v4, vcc_lo
	v_add_co_u32 v0, vcc_lo, v0, s4
	s_wait_alu 0xfffd
	v_add_co_ci_u32_e32 v1, vcc_lo, s5, v1, vcc_lo
	s_delay_alu instid0(VALU_DEP_3) | instskip(SKIP_1) | instid1(VALU_DEP_1)
	v_and_or_b32 v3, 0x8000, v5, v4
	v_and_b32_e32 v2, 0xffff, v2
	v_lshl_or_b32 v2, v3, 16, v2
	global_store_b32 v[0:1], v2, off
.LBB0_23:
	s_nop 0
	s_sendmsg sendmsg(MSG_DEALLOC_VGPRS)
	s_endpgm
	.section	.rodata,"a",@progbits
	.p2align	6, 0x0
	.amdhsa_kernel bluestein_single_back_len1785_dim1_half_op_CI_CI
		.amdhsa_group_segment_fixed_size 7140
		.amdhsa_private_segment_fixed_size 12
		.amdhsa_kernarg_size 104
		.amdhsa_user_sgpr_count 2
		.amdhsa_user_sgpr_dispatch_ptr 0
		.amdhsa_user_sgpr_queue_ptr 0
		.amdhsa_user_sgpr_kernarg_segment_ptr 1
		.amdhsa_user_sgpr_dispatch_id 0
		.amdhsa_user_sgpr_private_segment_size 0
		.amdhsa_wavefront_size32 1
		.amdhsa_uses_dynamic_stack 0
		.amdhsa_enable_private_segment 1
		.amdhsa_system_sgpr_workgroup_id_x 1
		.amdhsa_system_sgpr_workgroup_id_y 0
		.amdhsa_system_sgpr_workgroup_id_z 0
		.amdhsa_system_sgpr_workgroup_info 0
		.amdhsa_system_vgpr_workitem_id 0
		.amdhsa_next_free_vgpr 256
		.amdhsa_next_free_sgpr 16
		.amdhsa_reserve_vcc 1
		.amdhsa_float_round_mode_32 0
		.amdhsa_float_round_mode_16_64 0
		.amdhsa_float_denorm_mode_32 3
		.amdhsa_float_denorm_mode_16_64 3
		.amdhsa_fp16_overflow 0
		.amdhsa_workgroup_processor_mode 1
		.amdhsa_memory_ordered 1
		.amdhsa_forward_progress 0
		.amdhsa_round_robin_scheduling 0
		.amdhsa_exception_fp_ieee_invalid_op 0
		.amdhsa_exception_fp_denorm_src 0
		.amdhsa_exception_fp_ieee_div_zero 0
		.amdhsa_exception_fp_ieee_overflow 0
		.amdhsa_exception_fp_ieee_underflow 0
		.amdhsa_exception_fp_ieee_inexact 0
		.amdhsa_exception_int_div_zero 0
	.end_amdhsa_kernel
	.text
.Lfunc_end0:
	.size	bluestein_single_back_len1785_dim1_half_op_CI_CI, .Lfunc_end0-bluestein_single_back_len1785_dim1_half_op_CI_CI
                                        ; -- End function
	.section	.AMDGPU.csdata,"",@progbits
; Kernel info:
; codeLenInByte = 41200
; NumSgprs: 18
; NumVgprs: 256
; ScratchSize: 12
; MemoryBound: 0
; FloatMode: 240
; IeeeMode: 1
; LDSByteSize: 7140 bytes/workgroup (compile time only)
; SGPRBlocks: 2
; VGPRBlocks: 31
; NumSGPRsForWavesPerEU: 18
; NumVGPRsForWavesPerEU: 256
; Occupancy: 5
; WaveLimiterHint : 1
; COMPUTE_PGM_RSRC2:SCRATCH_EN: 1
; COMPUTE_PGM_RSRC2:USER_SGPR: 2
; COMPUTE_PGM_RSRC2:TRAP_HANDLER: 0
; COMPUTE_PGM_RSRC2:TGID_X_EN: 1
; COMPUTE_PGM_RSRC2:TGID_Y_EN: 0
; COMPUTE_PGM_RSRC2:TGID_Z_EN: 0
; COMPUTE_PGM_RSRC2:TIDIG_COMP_CNT: 0
	.text
	.p2alignl 7, 3214868480
	.fill 96, 4, 3214868480
	.type	__hip_cuid_28aea55cbf836ee3,@object ; @__hip_cuid_28aea55cbf836ee3
	.section	.bss,"aw",@nobits
	.globl	__hip_cuid_28aea55cbf836ee3
__hip_cuid_28aea55cbf836ee3:
	.byte	0                               ; 0x0
	.size	__hip_cuid_28aea55cbf836ee3, 1

	.ident	"AMD clang version 19.0.0git (https://github.com/RadeonOpenCompute/llvm-project roc-6.4.0 25133 c7fe45cf4b819c5991fe208aaa96edf142730f1d)"
	.section	".note.GNU-stack","",@progbits
	.addrsig
	.addrsig_sym __hip_cuid_28aea55cbf836ee3
	.amdgpu_metadata
---
amdhsa.kernels:
  - .args:
      - .actual_access:  read_only
        .address_space:  global
        .offset:         0
        .size:           8
        .value_kind:     global_buffer
      - .actual_access:  read_only
        .address_space:  global
        .offset:         8
        .size:           8
        .value_kind:     global_buffer
      - .actual_access:  read_only
        .address_space:  global
        .offset:         16
        .size:           8
        .value_kind:     global_buffer
      - .actual_access:  read_only
        .address_space:  global
        .offset:         24
        .size:           8
        .value_kind:     global_buffer
      - .actual_access:  read_only
        .address_space:  global
        .offset:         32
        .size:           8
        .value_kind:     global_buffer
      - .offset:         40
        .size:           8
        .value_kind:     by_value
      - .address_space:  global
        .offset:         48
        .size:           8
        .value_kind:     global_buffer
      - .address_space:  global
        .offset:         56
        .size:           8
        .value_kind:     global_buffer
      - .address_space:  global
        .offset:         64
        .size:           8
        .value_kind:     global_buffer
      - .address_space:  global
        .offset:         72
        .size:           8
        .value_kind:     global_buffer
      - .offset:         80
        .size:           4
        .value_kind:     by_value
      - .address_space:  global
        .offset:         88
        .size:           8
        .value_kind:     global_buffer
      - .address_space:  global
        .offset:         96
        .size:           8
        .value_kind:     global_buffer
    .group_segment_fixed_size: 7140
    .kernarg_segment_align: 8
    .kernarg_segment_size: 104
    .language:       OpenCL C
    .language_version:
      - 2
      - 0
    .max_flat_workgroup_size: 119
    .name:           bluestein_single_back_len1785_dim1_half_op_CI_CI
    .private_segment_fixed_size: 12
    .sgpr_count:     18
    .sgpr_spill_count: 0
    .symbol:         bluestein_single_back_len1785_dim1_half_op_CI_CI.kd
    .uniform_work_group_size: 1
    .uses_dynamic_stack: false
    .vgpr_count:     256
    .vgpr_spill_count: 2
    .wavefront_size: 32
    .workgroup_processor_mode: 1
amdhsa.target:   amdgcn-amd-amdhsa--gfx1201
amdhsa.version:
  - 1
  - 2
...

	.end_amdgpu_metadata
